;; amdgpu-corpus repo=ROCm/rocFFT kind=compiled arch=gfx1201 opt=O3
	.text
	.amdgcn_target "amdgcn-amd-amdhsa--gfx1201"
	.amdhsa_code_object_version 6
	.protected	fft_rtc_back_len1008_factors_2_2_2_2_3_3_7_wgs_56_tpt_56_halfLds_sp_ip_CI_unitstride_sbrr_dirReg ; -- Begin function fft_rtc_back_len1008_factors_2_2_2_2_3_3_7_wgs_56_tpt_56_halfLds_sp_ip_CI_unitstride_sbrr_dirReg
	.globl	fft_rtc_back_len1008_factors_2_2_2_2_3_3_7_wgs_56_tpt_56_halfLds_sp_ip_CI_unitstride_sbrr_dirReg
	.p2align	8
	.type	fft_rtc_back_len1008_factors_2_2_2_2_3_3_7_wgs_56_tpt_56_halfLds_sp_ip_CI_unitstride_sbrr_dirReg,@function
fft_rtc_back_len1008_factors_2_2_2_2_3_3_7_wgs_56_tpt_56_halfLds_sp_ip_CI_unitstride_sbrr_dirReg: ; @fft_rtc_back_len1008_factors_2_2_2_2_3_3_7_wgs_56_tpt_56_halfLds_sp_ip_CI_unitstride_sbrr_dirReg
; %bb.0:
	s_clause 0x2
	s_load_b128 s[4:7], s[0:1], 0x0
	s_load_b64 s[8:9], s[0:1], 0x50
	s_load_b64 s[10:11], s[0:1], 0x18
	v_mul_u32_u24_e32 v1, 0x493, v0
	v_mov_b32_e32 v3, 0
	s_delay_alu instid0(VALU_DEP_2) | instskip(NEXT) | instid1(VALU_DEP_1)
	v_lshrrev_b32_e32 v1, 16, v1
	v_add_nc_u32_e32 v5, ttmp9, v1
	v_mov_b32_e32 v1, 0
	v_mov_b32_e32 v2, 0
	;; [unrolled: 1-line block ×3, first 2 shown]
	s_wait_kmcnt 0x0
	v_cmp_lt_u64_e64 s2, s[6:7], 2
	s_delay_alu instid0(VALU_DEP_1)
	s_and_b32 vcc_lo, exec_lo, s2
	s_cbranch_vccnz .LBB0_8
; %bb.1:
	s_load_b64 s[2:3], s[0:1], 0x10
	v_mov_b32_e32 v1, 0
	v_mov_b32_e32 v2, 0
	s_add_nc_u64 s[12:13], s[10:11], 8
	s_mov_b64 s[14:15], 1
	s_wait_kmcnt 0x0
	s_add_nc_u64 s[16:17], s[2:3], 8
	s_mov_b32 s3, 0
.LBB0_2:                                ; =>This Inner Loop Header: Depth=1
	s_load_b64 s[18:19], s[16:17], 0x0
                                        ; implicit-def: $vgpr7_vgpr8
	s_mov_b32 s2, exec_lo
	s_wait_kmcnt 0x0
	v_or_b32_e32 v4, s19, v6
	s_delay_alu instid0(VALU_DEP_1)
	v_cmpx_ne_u64_e32 0, v[3:4]
	s_wait_alu 0xfffe
	s_xor_b32 s20, exec_lo, s2
	s_cbranch_execz .LBB0_4
; %bb.3:                                ;   in Loop: Header=BB0_2 Depth=1
	s_cvt_f32_u32 s2, s18
	s_cvt_f32_u32 s21, s19
	s_sub_nc_u64 s[24:25], 0, s[18:19]
	s_wait_alu 0xfffe
	s_delay_alu instid0(SALU_CYCLE_1) | instskip(SKIP_1) | instid1(SALU_CYCLE_2)
	s_fmamk_f32 s2, s21, 0x4f800000, s2
	s_wait_alu 0xfffe
	v_s_rcp_f32 s2, s2
	s_delay_alu instid0(TRANS32_DEP_1) | instskip(SKIP_1) | instid1(SALU_CYCLE_2)
	s_mul_f32 s2, s2, 0x5f7ffffc
	s_wait_alu 0xfffe
	s_mul_f32 s21, s2, 0x2f800000
	s_wait_alu 0xfffe
	s_delay_alu instid0(SALU_CYCLE_2) | instskip(SKIP_1) | instid1(SALU_CYCLE_2)
	s_trunc_f32 s21, s21
	s_wait_alu 0xfffe
	s_fmamk_f32 s2, s21, 0xcf800000, s2
	s_cvt_u32_f32 s23, s21
	s_wait_alu 0xfffe
	s_delay_alu instid0(SALU_CYCLE_1) | instskip(SKIP_1) | instid1(SALU_CYCLE_2)
	s_cvt_u32_f32 s22, s2
	s_wait_alu 0xfffe
	s_mul_u64 s[26:27], s[24:25], s[22:23]
	s_wait_alu 0xfffe
	s_mul_hi_u32 s29, s22, s27
	s_mul_i32 s28, s22, s27
	s_mul_hi_u32 s2, s22, s26
	s_mul_i32 s30, s23, s26
	s_wait_alu 0xfffe
	s_add_nc_u64 s[28:29], s[2:3], s[28:29]
	s_mul_hi_u32 s21, s23, s26
	s_mul_hi_u32 s31, s23, s27
	s_add_co_u32 s2, s28, s30
	s_wait_alu 0xfffe
	s_add_co_ci_u32 s2, s29, s21
	s_mul_i32 s26, s23, s27
	s_add_co_ci_u32 s27, s31, 0
	s_wait_alu 0xfffe
	s_add_nc_u64 s[26:27], s[2:3], s[26:27]
	s_wait_alu 0xfffe
	v_add_co_u32 v4, s2, s22, s26
	s_delay_alu instid0(VALU_DEP_1) | instskip(SKIP_1) | instid1(VALU_DEP_1)
	s_cmp_lg_u32 s2, 0
	s_add_co_ci_u32 s23, s23, s27
	v_readfirstlane_b32 s22, v4
	s_wait_alu 0xfffe
	s_delay_alu instid0(VALU_DEP_1)
	s_mul_u64 s[24:25], s[24:25], s[22:23]
	s_wait_alu 0xfffe
	s_mul_hi_u32 s27, s22, s25
	s_mul_i32 s26, s22, s25
	s_mul_hi_u32 s2, s22, s24
	s_mul_i32 s28, s23, s24
	s_wait_alu 0xfffe
	s_add_nc_u64 s[26:27], s[2:3], s[26:27]
	s_mul_hi_u32 s21, s23, s24
	s_mul_hi_u32 s22, s23, s25
	s_wait_alu 0xfffe
	s_add_co_u32 s2, s26, s28
	s_add_co_ci_u32 s2, s27, s21
	s_mul_i32 s24, s23, s25
	s_add_co_ci_u32 s25, s22, 0
	s_wait_alu 0xfffe
	s_add_nc_u64 s[24:25], s[2:3], s[24:25]
	s_wait_alu 0xfffe
	v_add_co_u32 v4, s2, v4, s24
	s_delay_alu instid0(VALU_DEP_1) | instskip(SKIP_1) | instid1(VALU_DEP_1)
	s_cmp_lg_u32 s2, 0
	s_add_co_ci_u32 s2, s23, s25
	v_mul_hi_u32 v13, v5, v4
	s_wait_alu 0xfffe
	v_mad_co_u64_u32 v[7:8], null, v5, s2, 0
	v_mad_co_u64_u32 v[9:10], null, v6, v4, 0
	;; [unrolled: 1-line block ×3, first 2 shown]
	s_delay_alu instid0(VALU_DEP_3) | instskip(SKIP_1) | instid1(VALU_DEP_4)
	v_add_co_u32 v4, vcc_lo, v13, v7
	s_wait_alu 0xfffd
	v_add_co_ci_u32_e32 v7, vcc_lo, 0, v8, vcc_lo
	s_delay_alu instid0(VALU_DEP_2) | instskip(SKIP_1) | instid1(VALU_DEP_2)
	v_add_co_u32 v4, vcc_lo, v4, v9
	s_wait_alu 0xfffd
	v_add_co_ci_u32_e32 v4, vcc_lo, v7, v10, vcc_lo
	s_wait_alu 0xfffd
	v_add_co_ci_u32_e32 v7, vcc_lo, 0, v12, vcc_lo
	s_delay_alu instid0(VALU_DEP_2) | instskip(SKIP_1) | instid1(VALU_DEP_2)
	v_add_co_u32 v4, vcc_lo, v4, v11
	s_wait_alu 0xfffd
	v_add_co_ci_u32_e32 v9, vcc_lo, 0, v7, vcc_lo
	s_delay_alu instid0(VALU_DEP_2) | instskip(SKIP_1) | instid1(VALU_DEP_3)
	v_mul_lo_u32 v10, s19, v4
	v_mad_co_u64_u32 v[7:8], null, s18, v4, 0
	v_mul_lo_u32 v11, s18, v9
	s_delay_alu instid0(VALU_DEP_2) | instskip(NEXT) | instid1(VALU_DEP_2)
	v_sub_co_u32 v7, vcc_lo, v5, v7
	v_add3_u32 v8, v8, v11, v10
	s_delay_alu instid0(VALU_DEP_1) | instskip(SKIP_1) | instid1(VALU_DEP_1)
	v_sub_nc_u32_e32 v10, v6, v8
	s_wait_alu 0xfffd
	v_subrev_co_ci_u32_e64 v10, s2, s19, v10, vcc_lo
	v_add_co_u32 v11, s2, v4, 2
	s_wait_alu 0xf1ff
	v_add_co_ci_u32_e64 v12, s2, 0, v9, s2
	v_sub_co_u32 v13, s2, v7, s18
	v_sub_co_ci_u32_e32 v8, vcc_lo, v6, v8, vcc_lo
	s_wait_alu 0xf1ff
	v_subrev_co_ci_u32_e64 v10, s2, 0, v10, s2
	s_delay_alu instid0(VALU_DEP_3) | instskip(NEXT) | instid1(VALU_DEP_3)
	v_cmp_le_u32_e32 vcc_lo, s18, v13
	v_cmp_eq_u32_e64 s2, s19, v8
	s_wait_alu 0xfffd
	v_cndmask_b32_e64 v13, 0, -1, vcc_lo
	v_cmp_le_u32_e32 vcc_lo, s19, v10
	s_wait_alu 0xfffd
	v_cndmask_b32_e64 v14, 0, -1, vcc_lo
	v_cmp_le_u32_e32 vcc_lo, s18, v7
	;; [unrolled: 3-line block ×3, first 2 shown]
	s_wait_alu 0xfffd
	v_cndmask_b32_e64 v15, 0, -1, vcc_lo
	v_cmp_eq_u32_e32 vcc_lo, s19, v10
	s_wait_alu 0xf1ff
	s_delay_alu instid0(VALU_DEP_2)
	v_cndmask_b32_e64 v7, v15, v7, s2
	s_wait_alu 0xfffd
	v_cndmask_b32_e32 v10, v14, v13, vcc_lo
	v_add_co_u32 v13, vcc_lo, v4, 1
	s_wait_alu 0xfffd
	v_add_co_ci_u32_e32 v14, vcc_lo, 0, v9, vcc_lo
	s_delay_alu instid0(VALU_DEP_3) | instskip(SKIP_2) | instid1(VALU_DEP_3)
	v_cmp_ne_u32_e32 vcc_lo, 0, v10
	s_wait_alu 0xfffd
	v_cndmask_b32_e32 v10, v13, v11, vcc_lo
	v_cndmask_b32_e32 v8, v14, v12, vcc_lo
	v_cmp_ne_u32_e32 vcc_lo, 0, v7
	s_wait_alu 0xfffd
	s_delay_alu instid0(VALU_DEP_2)
	v_dual_cndmask_b32 v7, v4, v10 :: v_dual_cndmask_b32 v8, v9, v8
.LBB0_4:                                ;   in Loop: Header=BB0_2 Depth=1
	s_wait_alu 0xfffe
	s_and_not1_saveexec_b32 s2, s20
	s_cbranch_execz .LBB0_6
; %bb.5:                                ;   in Loop: Header=BB0_2 Depth=1
	v_cvt_f32_u32_e32 v4, s18
	s_sub_co_i32 s20, 0, s18
	s_delay_alu instid0(VALU_DEP_1) | instskip(NEXT) | instid1(TRANS32_DEP_1)
	v_rcp_iflag_f32_e32 v4, v4
	v_mul_f32_e32 v4, 0x4f7ffffe, v4
	s_delay_alu instid0(VALU_DEP_1) | instskip(SKIP_1) | instid1(VALU_DEP_1)
	v_cvt_u32_f32_e32 v4, v4
	s_wait_alu 0xfffe
	v_mul_lo_u32 v7, s20, v4
	s_delay_alu instid0(VALU_DEP_1) | instskip(NEXT) | instid1(VALU_DEP_1)
	v_mul_hi_u32 v7, v4, v7
	v_add_nc_u32_e32 v4, v4, v7
	s_delay_alu instid0(VALU_DEP_1) | instskip(NEXT) | instid1(VALU_DEP_1)
	v_mul_hi_u32 v4, v5, v4
	v_mul_lo_u32 v7, v4, s18
	v_add_nc_u32_e32 v8, 1, v4
	s_delay_alu instid0(VALU_DEP_2) | instskip(NEXT) | instid1(VALU_DEP_1)
	v_sub_nc_u32_e32 v7, v5, v7
	v_subrev_nc_u32_e32 v9, s18, v7
	v_cmp_le_u32_e32 vcc_lo, s18, v7
	s_wait_alu 0xfffd
	s_delay_alu instid0(VALU_DEP_2) | instskip(NEXT) | instid1(VALU_DEP_1)
	v_dual_cndmask_b32 v7, v7, v9 :: v_dual_cndmask_b32 v4, v4, v8
	v_cmp_le_u32_e32 vcc_lo, s18, v7
	s_delay_alu instid0(VALU_DEP_2) | instskip(SKIP_1) | instid1(VALU_DEP_1)
	v_add_nc_u32_e32 v8, 1, v4
	s_wait_alu 0xfffd
	v_dual_cndmask_b32 v7, v4, v8 :: v_dual_mov_b32 v8, v3
.LBB0_6:                                ;   in Loop: Header=BB0_2 Depth=1
	s_wait_alu 0xfffe
	s_or_b32 exec_lo, exec_lo, s2
	s_load_b64 s[20:21], s[12:13], 0x0
	s_delay_alu instid0(VALU_DEP_1)
	v_mul_lo_u32 v4, v8, s18
	v_mul_lo_u32 v11, v7, s19
	v_mad_co_u64_u32 v[9:10], null, v7, s18, 0
	s_add_nc_u64 s[14:15], s[14:15], 1
	s_add_nc_u64 s[12:13], s[12:13], 8
	s_wait_alu 0xfffe
	v_cmp_ge_u64_e64 s2, s[14:15], s[6:7]
	s_add_nc_u64 s[16:17], s[16:17], 8
	s_delay_alu instid0(VALU_DEP_2) | instskip(NEXT) | instid1(VALU_DEP_3)
	v_add3_u32 v4, v10, v11, v4
	v_sub_co_u32 v5, vcc_lo, v5, v9
	s_wait_alu 0xfffd
	s_delay_alu instid0(VALU_DEP_2) | instskip(SKIP_3) | instid1(VALU_DEP_2)
	v_sub_co_ci_u32_e32 v4, vcc_lo, v6, v4, vcc_lo
	s_and_b32 vcc_lo, exec_lo, s2
	s_wait_kmcnt 0x0
	v_mul_lo_u32 v6, s21, v5
	v_mul_lo_u32 v4, s20, v4
	v_mad_co_u64_u32 v[1:2], null, s20, v5, v[1:2]
	s_delay_alu instid0(VALU_DEP_1)
	v_add3_u32 v2, v6, v2, v4
	s_wait_alu 0xfffe
	s_cbranch_vccnz .LBB0_9
; %bb.7:                                ;   in Loop: Header=BB0_2 Depth=1
	v_dual_mov_b32 v5, v7 :: v_dual_mov_b32 v6, v8
	s_branch .LBB0_2
.LBB0_8:
	v_dual_mov_b32 v8, v6 :: v_dual_mov_b32 v7, v5
.LBB0_9:
	s_lshl_b64 s[2:3], s[6:7], 3
	v_mul_hi_u32 v3, 0x4924925, v0
	s_wait_alu 0xfffe
	s_add_nc_u64 s[2:3], s[10:11], s[2:3]
	s_load_b64 s[2:3], s[2:3], 0x0
	s_load_b64 s[0:1], s[0:1], 0x20
	s_delay_alu instid0(VALU_DEP_1) | instskip(NEXT) | instid1(VALU_DEP_1)
	v_mul_u32_u24_e32 v3, 56, v3
	v_sub_nc_u32_e32 v0, v0, v3
	s_delay_alu instid0(VALU_DEP_1)
	v_or_b32_e32 v41, 0x1c0, v0
	s_wait_kmcnt 0x0
	v_mul_lo_u32 v4, s2, v8
	v_mul_lo_u32 v5, s3, v7
	v_mad_co_u64_u32 v[1:2], null, s2, v7, v[1:2]
	v_cmp_gt_u64_e32 vcc_lo, s[0:1], v[7:8]
	v_cmp_le_u64_e64 s0, s[0:1], v[7:8]
                                        ; implicit-def: $sgpr2_sgpr3
	s_delay_alu instid0(VALU_DEP_3) | instskip(NEXT) | instid1(VALU_DEP_2)
	v_add3_u32 v2, v5, v2, v4
	s_and_saveexec_b32 s1, s0
	s_wait_alu 0xfffe
	s_xor_b32 s0, exec_lo, s1
; %bb.10:
	v_or_b32_e32 v41, 0x1c0, v0
	s_mov_b64 s[2:3], 0
; %bb.11:
	s_wait_alu 0xfffe
	s_or_saveexec_b32 s1, s0
	v_lshlrev_b64_e32 v[2:3], 3, v[1:2]
	v_dual_mov_b32 v7, s3 :: v_dual_mov_b32 v6, s2
	v_dual_mov_b32 v15, s3 :: v_dual_mov_b32 v14, s2
	v_dual_mov_b32 v17, s3 :: v_dual_mov_b32 v16, s2
	v_dual_mov_b32 v9, s3 :: v_dual_mov_b32 v8, s2
	v_dual_mov_b32 v21, s3 :: v_dual_mov_b32 v20, s2
	v_dual_mov_b32 v19, s3 :: v_dual_mov_b32 v18, s2
	v_dual_mov_b32 v11, s3 :: v_dual_mov_b32 v10, s2
	v_dual_mov_b32 v13, s3 :: v_dual_mov_b32 v12, s2
	v_dual_mov_b32 v5, s3 :: v_dual_mov_b32 v4, s2
                                        ; implicit-def: $vgpr39
                                        ; implicit-def: $vgpr23
                                        ; implicit-def: $vgpr25
                                        ; implicit-def: $vgpr27
                                        ; implicit-def: $vgpr35
                                        ; implicit-def: $vgpr31
                                        ; implicit-def: $vgpr29
                                        ; implicit-def: $vgpr33
                                        ; implicit-def: $vgpr37
	s_wait_alu 0xfffe
	s_xor_b32 exec_lo, exec_lo, s1
; %bb.12:
	v_mov_b32_e32 v1, 0
	s_delay_alu instid0(VALU_DEP_1) | instskip(SKIP_3) | instid1(VALU_DEP_2)
	v_lshlrev_b64_e32 v[4:5], 3, v[0:1]
	v_add_co_u32 v1, s0, s8, v2
	s_wait_alu 0xf1ff
	v_add_co_ci_u32_e64 v6, s0, s9, v3, s0
	v_add_co_u32 v30, s0, v1, v4
	s_wait_alu 0xf1ff
	s_delay_alu instid0(VALU_DEP_2)
	v_add_co_ci_u32_e64 v31, s0, v6, v5, s0
	s_clause 0x11
	global_load_b64 v[36:37], v[30:31], off offset:4480
	global_load_b64 v[32:33], v[30:31], off offset:4928
	global_load_b64 v[6:7], v[30:31], off
	global_load_b64 v[14:15], v[30:31], off offset:448
	global_load_b64 v[16:17], v[30:31], off offset:896
	global_load_b64 v[8:9], v[30:31], off offset:1344
	global_load_b64 v[22:23], v[30:31], off offset:5376
	global_load_b64 v[24:25], v[30:31], off offset:5824
	global_load_b64 v[26:27], v[30:31], off offset:6272
	global_load_b64 v[28:29], v[30:31], off offset:6720
	global_load_b64 v[20:21], v[30:31], off offset:1792
	global_load_b64 v[18:19], v[30:31], off offset:2240
	global_load_b64 v[10:11], v[30:31], off offset:2688
	global_load_b64 v[12:13], v[30:31], off offset:3136
	global_load_b64 v[38:39], v[30:31], off offset:4032
	global_load_b64 v[4:5], v[30:31], off offset:3584
	global_load_b64 v[34:35], v[30:31], off offset:7168
	global_load_b64 v[30:31], v[30:31], off offset:7616
; %bb.13:
	s_or_b32 exec_lo, exec_lo, s1
	s_wait_loadcnt 0x3
	v_dual_sub_f32 v38, v6, v38 :: v_dual_sub_f32 v47, v7, v39
	v_dual_sub_f32 v33, v17, v33 :: v_dual_sub_f32 v40, v14, v36
	v_sub_f32_e32 v49, v15, v37
	s_wait_loadcnt 0x0
	v_sub_f32_e32 v53, v4, v30
	v_fma_f32 v46, v7, 2.0, -v47
	v_sub_f32_e32 v7, v16, v32
	v_fma_f32 v32, v17, 2.0, -v33
	;; [unrolled: 2-line block ×3, first 2 shown]
	v_fma_f32 v39, v14, 2.0, -v40
	v_dual_sub_f32 v43, v8, v22 :: v_dual_add_nc_u32 v14, 0xa8, v0
	v_add_nc_u32_e32 v44, 0x70, v0
	v_fma_f32 v52, v4, 2.0, -v53
	v_lshl_add_u32 v45, v0, 2, 0
	v_dual_sub_f32 v23, v20, v24 :: v_dual_lshlrev_b32 v4, 2, v41
	v_fma_f32 v6, v16, 2.0, -v7
	v_fma_f32 v16, v9, 2.0, -v17
	v_sub_f32_e32 v9, v19, v27
	v_sub_f32_e32 v27, v11, v29
	v_dual_sub_f32 v29, v12, v34 :: v_dual_add_nc_u32 v36, 0x400, v45
	v_sub_f32_e32 v25, v21, v25
	v_fma_f32 v22, v20, 2.0, -v23
	v_sub_f32_e32 v20, v10, v28
	s_delay_alu instid0(VALU_DEP_4) | instskip(SKIP_4) | instid1(VALU_DEP_4)
	v_fma_f32 v28, v12, 2.0, -v29
	v_dual_sub_f32 v31, v5, v31 :: v_dual_add_nc_u32 v12, 0xe0, v0
	v_dual_sub_f32 v51, v18, v26 :: v_dual_add_nc_u32 v60, 0x150, v0
	v_add_nc_u32_e32 v1, 56, v0
	v_sub_f32_e32 v35, v13, v35
	v_fma_f32 v30, v5, 2.0, -v31
	v_lshl_add_u32 v5, v0, 3, 0
	v_fma_f32 v50, v18, 2.0, -v51
	v_lshl_add_u32 v18, v1, 3, 0
	v_lshl_add_u32 v58, v44, 3, 0
	v_fma_f32 v42, v8, 2.0, -v43
	v_lshl_add_u32 v59, v14, 3, 0
	ds_store_b64 v5, v[37:38]
	ds_store_b64 v18, v[39:40]
	;; [unrolled: 1-line block ×4, first 2 shown]
	v_add_nc_u32_e32 v42, 0xc00, v45
	v_fma_f32 v34, v13, 2.0, -v35
	v_add_nc_u32_e32 v13, 0x118, v0
	v_add_nc_u32_e32 v61, 0x188, v0
	v_lshl_add_u32 v62, v41, 3, 0
	v_lshl_add_u32 v6, v12, 3, 0
	v_add_nc_u32_e32 v40, 0xa00, v45
	v_fma_f32 v8, v19, 2.0, -v9
	v_fma_f32 v19, v10, 2.0, -v20
	v_add_nc_u32_e32 v10, 0x200, v45
	v_and_b32_e32 v65, 1, v0
	v_fma_f32 v48, v15, 2.0, -v49
	v_fma_f32 v26, v11, 2.0, -v27
	v_lshl_add_u32 v7, v13, 3, 0
	v_add_nc_u32_e32 v11, 0x600, v45
	v_lshl_add_u32 v39, v60, 3, 0
	v_lshl_add_u32 v43, v61, 3, 0
	v_add_nc_u32_e32 v15, 0x800, v45
	v_sub_nc_u32_e32 v4, v62, v4
	v_fma_f32 v24, v21, 2.0, -v25
	ds_store_b64 v6, v[22:23]
	ds_store_b64 v7, v[50:51]
	;; [unrolled: 1-line block ×5, first 2 shown]
	global_wb scope:SCOPE_SE
	s_wait_dscnt 0x0
	s_barrier_signal -1
	s_barrier_wait -1
	global_inv scope:SCOPE_SE
	ds_load_2addr_b32 v[20:21], v45 offset1:56
	ds_load_2addr_b32 v[22:23], v11 offset0:120 offset1:176
	ds_load_2addr_b32 v[28:29], v45 offset0:112 offset1:168
	;; [unrolled: 1-line block ×7, first 2 shown]
	ds_load_b32 v63, v4
	ds_load_b32 v64, v45 offset:3808
	global_wb scope:SCOPE_SE
	s_wait_dscnt 0x0
	s_barrier_signal -1
	s_barrier_wait -1
	global_inv scope:SCOPE_SE
	ds_store_b64 v5, v[46:47]
	ds_store_b64 v18, v[48:49]
	;; [unrolled: 1-line block ×4, first 2 shown]
	v_lshlrev_b32_e32 v5, 3, v65
	v_lshlrev_b32_e32 v16, 1, v12
	ds_store_b64 v6, v[24:25]
	ds_store_b64 v7, v[8:9]
	;; [unrolled: 1-line block ×5, first 2 shown]
	global_wb scope:SCOPE_SE
	s_wait_dscnt 0x0
	s_barrier_signal -1
	s_barrier_wait -1
	global_inv scope:SCOPE_SE
	global_load_b64 v[24:25], v5, s[4:5]
	v_lshlrev_b32_e32 v18, 1, v60
	v_lshlrev_b32_e32 v19, 1, v61
	ds_load_2addr_b32 v[26:27], v45 offset1:56
	ds_load_2addr_b32 v[30:31], v11 offset0:120 offset1:176
	ds_load_2addr_b32 v[32:33], v45 offset0:112 offset1:168
	;; [unrolled: 1-line block ×7, first 2 shown]
	ds_load_b32 v66, v4
	ds_load_b32 v67, v45 offset:3808
	v_and_b32_e32 v39, 3, v0
	v_lshlrev_b32_e32 v9, 1, v14
	v_lshlrev_b32_e32 v5, 1, v0
	;; [unrolled: 1-line block ×4, first 2 shown]
	global_wb scope:SCOPE_SE
	s_wait_loadcnt_dscnt 0x0
	s_barrier_signal -1
	s_barrier_wait -1
	global_inv scope:SCOPE_SE
	v_cmp_gt_u32_e64 s0, 48, v0
	v_mul_f32_e32 v82, v48, v25
	v_mul_f32_e32 v74, v30, v25
	;; [unrolled: 1-line block ×10, first 2 shown]
	v_lshlrev_b32_e32 v62, 3, v39
	v_fmac_f32_e32 v74, v22, v24
	v_mul_f32_e32 v88, v61, v25
	v_mul_f32_e32 v81, v38, v25
	v_fma_f32 v22, v30, v24, -v75
	v_dual_mul_f32 v83, v52, v25 :: v_dual_fmac_f32 v78, v37, v24
	v_mul_f32_e32 v90, v67, v25
	v_mul_f32_e32 v85, v53, v25
	v_dual_fmac_f32 v80, v38, v24 :: v_dual_lshlrev_b32 v7, 1, v1
	v_dual_fmac_f32 v76, v23, v24 :: v_dual_mul_f32 v87, v56, v25
	v_fmac_f32_e32 v86, v56, v24
	v_fma_f32 v30, v34, v24, -v79
	v_mul_f32_e32 v89, v57, v25
	v_mul_f32_e32 v25, v64, v25
	v_fma_f32 v23, v31, v24, -v77
	v_fmac_f32_e32 v88, v57, v24
	v_fma_f32 v31, v35, v24, -v81
	v_dual_fmac_f32 v82, v52, v24 :: v_dual_lshlrev_b32 v17, 1, v13
	v_fma_f32 v34, v48, v24, -v83
	v_fmac_f32_e32 v84, v53, v24
	v_fmac_f32_e32 v90, v64, v24
	v_fma_f32 v35, v49, v24, -v85
	v_and_or_b32 v41, 0x7c, v5, v65
	v_sub_f32_e32 v48, v26, v22
	v_sub_f32_e32 v22, v21, v76
	v_fma_f32 v37, v60, v24, -v87
	v_sub_f32_e32 v52, v32, v30
	v_fma_f32 v38, v61, v24, -v89
	;; [unrolled: 2-line block ×3, first 2 shown]
	v_sub_f32_e32 v25, v20, v74
	v_and_or_b32 v68, 0xfc, v7, v65
	v_dual_sub_f32 v49, v27, v23 :: v_dual_sub_f32 v56, v46, v34
	v_and_or_b32 v69, 0x1fc, v8, v65
	v_sub_f32_e32 v23, v28, v78
	v_and_or_b32 v70, 0x1fc, v9, v65
	v_dual_sub_f32 v53, v33, v31 :: v_dual_sub_f32 v34, v51, v84
	v_and_or_b32 v71, 0x3fc, v16, v65
	v_dual_sub_f32 v31, v50, v82 :: v_dual_sub_f32 v60, v55, v88
	v_dual_sub_f32 v57, v47, v35 :: v_dual_sub_f32 v64, v66, v24
	v_sub_f32_e32 v35, v54, v86
	v_sub_f32_e32 v61, v63, v90
	v_and_or_b32 v43, 0x3fc, v6, v65
	v_lshl_add_u32 v41, v41, 2, 0
	v_and_or_b32 v72, 0x2fc, v17, v65
	v_and_or_b32 v73, 0x3fc, v18, v65
	;; [unrolled: 1-line block ×3, first 2 shown]
	v_dual_sub_f32 v37, v58, v37 :: v_dual_sub_f32 v38, v59, v38
	v_fma_f32 v20, v20, 2.0, -v25
	v_fma_f32 v67, v26, 2.0, -v48
	v_lshl_add_u32 v68, v68, 2, 0
	v_fma_f32 v21, v21, 2.0, -v22
	v_fma_f32 v74, v27, 2.0, -v49
	v_lshl_add_u32 v69, v69, 2, 0
	;; [unrolled: 3-line block ×4, first 2 shown]
	v_fma_f32 v27, v50, 2.0, -v31
	v_fma_f32 v46, v46, 2.0, -v56
	;; [unrolled: 1-line block ×6, first 2 shown]
	v_lshl_add_u32 v43, v43, 2, 0
	v_lshl_add_u32 v72, v72, 2, 0
	;; [unrolled: 1-line block ×4, first 2 shown]
	v_fma_f32 v47, v47, 2.0, -v57
	v_fma_f32 v50, v58, 2.0, -v37
	;; [unrolled: 1-line block ×4, first 2 shown]
	ds_store_2addr_b32 v41, v20, v25 offset1:2
	ds_store_2addr_b32 v68, v21, v22 offset1:2
	ds_store_2addr_b32 v69, v24, v23 offset1:2
	ds_store_2addr_b32 v70, v26, v30 offset1:2
	ds_store_2addr_b32 v71, v27, v31 offset1:2
	ds_store_2addr_b32 v72, v28, v34 offset1:2
	ds_store_2addr_b32 v73, v29, v35 offset1:2
	ds_store_2addr_b32 v65, v32, v60 offset1:2
	ds_store_2addr_b32 v43, v33, v61 offset1:2
	global_wb scope:SCOPE_SE
	s_wait_dscnt 0x0
	s_barrier_signal -1
	s_barrier_wait -1
	global_inv scope:SCOPE_SE
	ds_load_2addr_b32 v[20:21], v45 offset1:56
	ds_load_2addr_b32 v[22:23], v11 offset0:120 offset1:176
	ds_load_2addr_b32 v[24:25], v45 offset0:112 offset1:168
	;; [unrolled: 1-line block ×7, first 2 shown]
	ds_load_b32 v63, v4
	ds_load_b32 v66, v45 offset:3808
	global_wb scope:SCOPE_SE
	s_wait_dscnt 0x0
	s_barrier_signal -1
	s_barrier_wait -1
	global_inv scope:SCOPE_SE
	ds_store_2addr_b32 v41, v67, v48 offset1:2
	ds_store_2addr_b32 v68, v74, v49 offset1:2
	;; [unrolled: 1-line block ×9, first 2 shown]
	global_wb scope:SCOPE_SE
	s_wait_dscnt 0x0
	s_barrier_signal -1
	s_barrier_wait -1
	global_inv scope:SCOPE_SE
	global_load_b64 v[37:38], v62, s[4:5] offset:16
	v_and_or_b32 v46, 0x3f8, v6, v39
	v_and_or_b32 v47, 0xf8, v7, v39
	;; [unrolled: 1-line block ×7, first 2 shown]
	v_lshl_add_u32 v64, v46, 2, 0
	v_lshl_add_u32 v65, v47, 2, 0
	ds_load_2addr_b32 v[46:47], v11 offset0:120 offset1:176
	v_lshl_add_u32 v67, v48, 2, 0
	v_lshl_add_u32 v68, v49, 2, 0
	;; [unrolled: 1-line block ×3, first 2 shown]
	ds_load_2addr_b32 v[48:49], v15 offset0:104 offset1:160
	v_lshl_add_u32 v70, v51, 2, 0
	v_lshl_add_u32 v71, v52, 2, 0
	ds_load_2addr_b32 v[50:51], v40 offset0:88 offset1:144
	ds_load_2addr_b32 v[52:53], v45 offset1:56
	ds_load_2addr_b32 v[54:55], v45 offset0:112 offset1:168
	ds_load_2addr_b32 v[56:57], v10 offset0:96 offset1:152
	;; [unrolled: 1-line block ×4, first 2 shown]
	ds_load_b32 v72, v4
	ds_load_b32 v73, v45 offset:3808
	v_and_b32_e32 v41, 7, v0
	v_and_or_b32 v43, 0x78, v5, v39
	v_and_or_b32 v39, 0x3f8, v19, v39
	global_wb scope:SCOPE_SE
	s_wait_loadcnt_dscnt 0x0
	s_barrier_signal -1
	s_barrier_wait -1
	v_lshl_add_u32 v43, v43, 2, 0
	v_lshl_add_u32 v39, v39, 2, 0
	global_inv scope:SCOPE_SE
	v_mul_f32_e32 v74, v46, v38
	v_mul_f32_e32 v88, v59, v38
	;; [unrolled: 1-line block ×6, first 2 shown]
	v_dual_mul_f32 v87, v34, v38 :: v_dual_fmac_f32 v88, v35, v37
	v_fmac_f32_e32 v90, v66, v37
	v_fma_f32 v35, v59, v37, -v89
	v_mul_f32_e32 v84, v51, v38
	v_fmac_f32_e32 v86, v34, v37
	v_mul_f32_e32 v80, v49, v38
	v_mul_f32_e32 v79, v26, v38
	v_sub_f32_e32 v35, v61, v35
	v_dual_mul_f32 v83, v30, v38 :: v_dual_fmac_f32 v84, v31, v37
	v_fma_f32 v31, v51, v37, -v85
	v_mul_f32_e32 v82, v50, v38
	v_fmac_f32_e32 v80, v27, v37
	v_mul_f32_e32 v76, v47, v38
	v_mul_f32_e32 v75, v22, v38
	v_sub_f32_e32 v51, v57, v31
	v_dual_mul_f32 v81, v27, v38 :: v_dual_fmac_f32 v82, v30, v37
	v_fmac_f32_e32 v74, v22, v37
	v_fmac_f32_e32 v76, v23, v37
	v_fma_f32 v22, v46, v37, -v75
	s_delay_alu instid0(VALU_DEP_4) | instskip(SKIP_3) | instid1(VALU_DEP_4)
	v_fma_f32 v27, v49, v37, -v81
	v_mul_f32_e32 v78, v48, v38
	v_fma_f32 v30, v50, v37, -v83
	v_fma_f32 v34, v58, v37, -v87
	v_dual_sub_f32 v46, v52, v22 :: v_dual_sub_f32 v49, v55, v27
	s_delay_alu instid0(VALU_DEP_4) | instskip(SKIP_3) | instid1(VALU_DEP_4)
	v_dual_mul_f32 v77, v23, v38 :: v_dual_fmac_f32 v78, v26, v37
	v_mul_f32_e32 v38, v66, v38
	v_fma_f32 v26, v48, v37, -v79
	v_sub_f32_e32 v22, v21, v76
	v_fma_f32 v23, v47, v37, -v77
	v_sub_f32_e32 v27, v28, v82
	;; [unrolled: 2-line block ×3, first 2 shown]
	s_delay_alu instid0(VALU_DEP_4)
	v_dual_sub_f32 v48, v54, v26 :: v_dual_sub_f32 v47, v53, v23
	v_dual_sub_f32 v23, v24, v78 :: v_dual_sub_f32 v26, v25, v80
	v_sub_f32_e32 v50, v56, v30
	v_dual_sub_f32 v30, v29, v84 :: v_dual_sub_f32 v31, v32, v86
	v_sub_f32_e32 v58, v60, v34
	v_dual_sub_f32 v34, v33, v88 :: v_dual_sub_f32 v59, v63, v90
	v_lshlrev_b32_e32 v62, 3, v41
	v_sub_f32_e32 v66, v72, v37
	v_fma_f32 v20, v20, 2.0, -v38
	v_fma_f32 v52, v52, 2.0, -v46
	;; [unrolled: 1-line block ×18, first 2 shown]
	ds_store_2addr_b32 v43, v20, v38 offset1:4
	ds_store_2addr_b32 v65, v21, v22 offset1:4
	;; [unrolled: 1-line block ×9, first 2 shown]
	global_wb scope:SCOPE_SE
	s_wait_dscnt 0x0
	s_barrier_signal -1
	s_barrier_wait -1
	global_inv scope:SCOPE_SE
	ds_load_2addr_b32 v[21:22], v45 offset1:56
	ds_load_2addr_b32 v[23:24], v11 offset0:120 offset1:176
	ds_load_2addr_b32 v[25:26], v45 offset0:112 offset1:168
	;; [unrolled: 1-line block ×7, first 2 shown]
	ds_load_b32 v59, v4
	ds_load_b32 v72, v45 offset:3808
	global_wb scope:SCOPE_SE
	s_wait_dscnt 0x0
	s_barrier_signal -1
	s_barrier_wait -1
	global_inv scope:SCOPE_SE
	ds_store_2addr_b32 v43, v52, v46 offset1:4
	ds_store_2addr_b32 v65, v53, v47 offset1:4
	;; [unrolled: 1-line block ×9, first 2 shown]
	global_wb scope:SCOPE_SE
	s_wait_dscnt 0x0
	s_barrier_signal -1
	s_barrier_wait -1
	global_inv scope:SCOPE_SE
	global_load_b64 v[46:47], v62, s[4:5] offset:48
	v_and_or_b32 v5, 0x70, v5, v41
	v_and_or_b32 v6, 0x3f0, v6, v41
	v_and_b32_e32 v39, 15, v1
	v_and_b32_e32 v43, 15, v13
	s_delay_alu instid0(VALU_DEP_4)
	v_lshl_add_u32 v56, v5, 2, 0
	v_and_or_b32 v5, 0xf0, v7, v41
	v_and_or_b32 v7, 0x1f0, v8, v41
	;; [unrolled: 1-line block ×7, first 2 shown]
	v_lshl_add_u32 v60, v7, 2, 0
	v_lshl_add_u32 v61, v8, 2, 0
	ds_load_2addr_b32 v[7:8], v15 offset0:104 offset1:160
	v_lshl_add_u32 v41, v6, 2, 0
	v_lshl_add_u32 v58, v5, 2, 0
	ds_load_2addr_b32 v[5:6], v11 offset0:120 offset1:176
	v_lshl_add_u32 v62, v9, 2, 0
	v_lshl_add_u32 v63, v16, 2, 0
	;; [unrolled: 1-line block ×4, first 2 shown]
	ds_load_2addr_b32 v[16:17], v40 offset0:88 offset1:144
	ds_load_2addr_b32 v[18:19], v45 offset1:56
	ds_load_2addr_b32 v[48:49], v45 offset0:112 offset1:168
	ds_load_2addr_b32 v[50:51], v10 offset0:96 offset1:152
	;; [unrolled: 1-line block ×4, first 2 shown]
	ds_load_b32 v4, v4
	ds_load_b32 v9, v45 offset:3808
	v_and_b32_e32 v20, 15, v0
	global_wb scope:SCOPE_SE
	s_wait_loadcnt_dscnt 0x0
	s_barrier_signal -1
	s_barrier_wait -1
	global_inv scope:SCOPE_SE
	v_lshlrev_b32_e32 v57, 4, v43
	v_mul_f32_e32 v73, v8, v47
	v_mul_f32_e32 v66, v5, v47
	;; [unrolled: 1-line block ×5, first 2 shown]
	v_dual_fmac_f32 v73, v28, v46 :: v_dual_mul_f32 v68, v6, v47
	v_mul_f32_e32 v71, v27, v47
	v_mul_f32_e32 v79, v52, v47
	;; [unrolled: 1-line block ×5, first 2 shown]
	v_dual_mul_f32 v75, v16, v47 :: v_dual_fmac_f32 v66, v23, v46
	v_mul_f32_e32 v83, v9, v47
	v_mul_f32_e32 v76, v31, v47
	;; [unrolled: 1-line block ×3, first 2 shown]
	v_fma_f32 v5, v5, v46, -v67
	v_fma_f32 v6, v6, v46, -v69
	v_dual_mul_f32 v82, v38, v47 :: v_dual_fmac_f32 v77, v32, v46
	v_fmac_f32_e32 v68, v24, v46
	v_mul_f32_e32 v80, v37, v47
	v_mul_f32_e32 v47, v72, v47
	v_fma_f32 v7, v7, v46, -v71
	v_fmac_f32_e32 v79, v37, v46
	v_fmac_f32_e32 v70, v27, v46
	;; [unrolled: 1-line block ×3, first 2 shown]
	v_fma_f32 v8, v8, v46, -v74
	v_fmac_f32_e32 v75, v31, v46
	v_fmac_f32_e32 v83, v72, v46
	v_fma_f32 v16, v16, v46, -v76
	v_fma_f32 v23, v52, v46, -v80
	;; [unrolled: 1-line block ×3, first 2 shown]
	v_sub_f32_e32 v27, v21, v66
	v_fma_f32 v17, v17, v46, -v78
	v_sub_f32_e32 v47, v19, v6
	v_fma_f32 v24, v53, v46, -v82
	v_sub_f32_e32 v46, v18, v5
	v_dual_sub_f32 v52, v48, v7 :: v_dual_sub_f32 v53, v49, v8
	v_sub_f32_e32 v7, v26, v73
	v_dual_sub_f32 v5, v22, v68 :: v_dual_sub_f32 v6, v25, v70
	v_dual_sub_f32 v17, v51, v17 :: v_dual_sub_f32 v8, v29, v75
	;; [unrolled: 1-line block ×4, first 2 shown]
	v_dual_sub_f32 v32, v34, v81 :: v_dual_lshlrev_b32 v35, 4, v20
	v_dual_sub_f32 v23, v54, v23 :: v_dual_sub_f32 v24, v55, v24
	v_sub_f32_e32 v66, v4, v9
	v_fma_f32 v9, v21, 2.0, -v27
	v_fma_f32 v18, v18, 2.0, -v46
	;; [unrolled: 1-line block ×18, first 2 shown]
	ds_store_2addr_b32 v56, v9, v27 offset1:8
	ds_store_2addr_b32 v58, v21, v5 offset1:8
	;; [unrolled: 1-line block ×9, first 2 shown]
	global_wb scope:SCOPE_SE
	s_wait_dscnt 0x0
	s_barrier_signal -1
	s_barrier_wait -1
	global_inv scope:SCOPE_SE
	ds_load_2addr_b32 v[8:9], v45 offset1:56
	ds_load_2addr_b32 v[25:26], v36 offset0:80 offset1:136
	ds_load_2addr_b32 v[27:28], v15 offset0:160 offset1:216
	;; [unrolled: 1-line block ×8, first 2 shown]
	global_wb scope:SCOPE_SE
	s_wait_dscnt 0x0
	s_barrier_signal -1
	s_barrier_wait -1
	global_inv scope:SCOPE_SE
	ds_store_2addr_b32 v56, v18, v46 offset1:8
	ds_store_2addr_b32 v58, v19, v47 offset1:8
	;; [unrolled: 1-line block ×9, first 2 shown]
	global_wb scope:SCOPE_SE
	s_wait_dscnt 0x0
	s_barrier_signal -1
	s_barrier_wait -1
	global_inv scope:SCOPE_SE
	s_clause 0x1
	global_load_b128 v[16:19], v35, s[4:5] offset:112
	global_load_b64 v[46:47], v57, s[4:5] offset:112
	v_and_b32_e32 v35, 15, v14
	v_lshlrev_b32_e32 v21, 4, v39
	s_clause 0x1
	global_load_b64 v[48:49], v57, s[4:5] offset:120
	global_load_b32 v41, v21, s[4:5] offset:112
	v_lshlrev_b32_e32 v21, 4, v35
	s_clause 0x2
	global_load_b128 v[21:24], v21, s[4:5] offset:112
	global_load_b64 v[50:51], v57, s[4:5] offset:116
	global_load_b32 v72, v57, s[4:5] offset:124
	v_subrev_nc_u32_e32 v54, 48, v0
	v_mov_b32_e32 v53, 0
	v_lshrrev_b32_e32 v55, 4, v1
	v_lshrrev_b32_e32 v56, 4, v44
	v_and_b32_e32 v60, 0xff, v44
	s_wait_alu 0xf1ff
	v_cndmask_b32_e64 v85, v54, v0, s0
	v_and_b32_e32 v54, 0xff, v1
	v_mul_u32_u24_e32 v55, 48, v55
	v_mul_u32_u24_e32 v56, 48, v56
	v_mul_lo_u16 v60, 0xab, v60
	v_lshrrev_b32_e32 v57, 4, v14
	v_mul_lo_u16 v54, 0xab, v54
	v_lshrrev_b32_e32 v59, 4, v13
	v_or_b32_e32 v39, v55, v39
	v_or_b32_e32 v55, v56, v20
	v_lshrrev_b16 v87, 13, v60
	v_lshrrev_b16 v86, 13, v54
	v_mul_u32_u24_e32 v57, 48, v57
	v_mul_u32_u24_e32 v59, 48, v59
	v_lshl_add_u32 v74, v55, 2, 0
	v_mul_lo_u16 v55, v87, 48
	v_mul_lo_u16 v54, v86, 48
	v_or_b32_e32 v35, v57, v35
	v_or_b32_e32 v43, v59, v43
	v_and_b32_e32 v61, 0xff, v14
	v_sub_nc_u16 v59, v44, v55
	v_sub_nc_u16 v54, v1, v54
	v_lshrrev_b32_e32 v52, 4, v0
	v_lshrrev_b32_e32 v58, 4, v12
	v_and_b32_e32 v63, 0xffff, v13
	v_lshl_add_u32 v39, v39, 2, 0
	v_and_b32_e32 v92, 0xff, v54
	ds_load_2addr_b32 v[54:55], v36 offset0:80 offset1:136
	ds_load_2addr_b32 v[56:57], v15 offset0:160 offset1:216
	v_mul_u32_u24_e32 v52, 48, v52
	v_and_b32_e32 v62, 0xffff, v12
	v_mul_u32_u24_e32 v58, 48, v58
	v_and_b32_e32 v93, 0xff, v59
	v_lshl_add_u32 v35, v35, 2, 0
	v_or_b32_e32 v64, v52, v20
	v_lshlrev_b32_e32 v52, 1, v85
	v_or_b32_e32 v20, v58, v20
	v_lshl_add_u32 v43, v43, 2, 0
	s_delay_alu instid0(VALU_DEP_4) | instskip(NEXT) | instid1(VALU_DEP_3)
	v_lshl_add_u32 v73, v64, 2, 0
	v_lshl_add_u32 v20, v20, 2, 0
	s_wait_loadcnt_dscnt 0x501
	v_dual_mul_f32 v76, v25, v17 :: v_dual_mul_f32 v79, v55, v47
	v_mul_lo_u16 v61, 0xab, v61
	s_wait_dscnt 0x0
	v_mul_f32_e32 v77, v56, v19
	v_mul_u32_u24_e32 v62, 0xaaab, v62
	v_mul_f32_e32 v78, v27, v19
	v_mul_u32_u24_e32 v63, 0xaaab, v63
	v_lshrrev_b16 v88, 13, v61
	v_mul_f32_e32 v75, v54, v17
	v_lshrrev_b32_e32 v89, 21, v62
	v_mul_f32_e32 v47, v26, v47
	v_lshrrev_b32_e32 v90, 21, v63
	v_mul_lo_u16 v58, v88, 48
	v_lshlrev_b32_e32 v94, 4, v92
	s_wait_loadcnt 0x4
	v_mul_f32_e32 v80, v57, v49
	v_mul_f32_e32 v49, v28, v49
	v_fmac_f32_e32 v75, v25, v16
	v_sub_nc_u16 v14, v14, v58
	ds_load_2addr_b32 v[58:59], v45 offset1:56
	ds_load_2addr_b32 v[60:61], v36 offset0:192 offset1:248
	ds_load_2addr_b32 v[62:63], v45 offset0:112 offset1:168
	;; [unrolled: 1-line block ×6, first 2 shown]
	s_wait_loadcnt 0x1
	v_dual_fmac_f32 v80, v28, v51 :: v_dual_fmac_f32 v79, v26, v41
	v_fma_f32 v54, v54, v16, -v76
	v_mul_f32_e32 v26, v29, v17
	v_fma_f32 v41, v55, v41, -v47
	v_mul_f32_e32 v55, v31, v19
	v_fma_f32 v28, v56, v18, -v78
	v_fma_f32 v49, v57, v51, -v49
	s_wait_loadcnt 0x0
	v_mul_f32_e32 v56, v38, v72
	v_mul_lo_u16 v91, v89, 48
	v_lshlrev_b64_e32 v[52:53], 3, v[52:53]
	global_wb scope:SCOPE_SE
	s_wait_dscnt 0x0
	s_barrier_signal -1
	s_barrier_wait -1
	v_dual_mul_f32 v25, v60, v17 :: v_dual_mul_f32 v76, v61, v22
	v_dual_mul_f32 v22, v30, v22 :: v_dual_mul_f32 v47, v64, v19
	v_fmac_f32_e32 v77, v27, v18
	v_mul_f32_e32 v27, v65, v24
	v_mul_f32_e32 v24, v32, v24
	;; [unrolled: 1-line block ×3, first 2 shown]
	v_fmac_f32_e32 v76, v30, v21
	v_mul_f32_e32 v17, v33, v17
	v_fma_f32 v21, v61, v21, -v22
	v_mul_f32_e32 v22, v69, v50
	v_fmac_f32_e32 v25, v29, v16
	v_mul_f32_e32 v29, v70, v19
	v_dual_mul_f32 v19, v37, v19 :: v_dual_mul_f32 v30, v34, v50
	v_mul_f32_e32 v50, v71, v72
	v_fmac_f32_e32 v47, v31, v18
	v_fma_f32 v26, v60, v16, -v26
	v_fma_f32 v31, v64, v18, -v55
	v_dual_fmac_f32 v27, v32, v23 :: v_dual_sub_f32 v32, v54, v28
	v_fma_f32 v23, v65, v23, -v24
	v_dual_fmac_f32 v51, v33, v16 :: v_dual_add_f32 v24, v8, v75
	v_fma_f32 v16, v68, v16, -v17
	v_fmac_f32_e32 v29, v37, v18
	v_fma_f32 v17, v70, v18, -v19
	v_fmac_f32_e32 v22, v34, v46
	v_add_f32_e32 v34, v54, v28
	v_fma_f32 v18, v69, v46, -v30
	v_fmac_f32_e32 v50, v38, v48
	v_fma_f32 v19, v71, v48, -v56
	v_dual_add_f32 v30, v75, v77 :: v_dual_add_f32 v33, v58, v54
	v_add_f32_e32 v38, v9, v79
	v_add_f32_e32 v46, v79, v80
	v_dual_add_f32 v54, v59, v41 :: v_dual_add_f32 v57, v25, v47
	v_dual_sub_f32 v37, v75, v77 :: v_dual_sub_f32 v60, v26, v31
	v_dual_sub_f32 v48, v41, v49 :: v_dual_sub_f32 v55, v79, v80
	v_add_f32_e32 v41, v41, v49
	v_dual_add_f32 v56, v6, v25 :: v_dual_sub_f32 v25, v25, v47
	v_dual_add_f32 v61, v62, v26 :: v_dual_add_f32 v64, v7, v76
	v_dual_add_f32 v26, v26, v31 :: v_dual_add_f32 v69, v63, v21
	;; [unrolled: 1-line block ×3, first 2 shown]
	v_dual_sub_f32 v68, v21, v23 :: v_dual_sub_f32 v75, v16, v17
	v_add_f32_e32 v21, v21, v23
	v_sub_f32_e32 v70, v76, v27
	v_dual_add_f32 v71, v4, v51 :: v_dual_add_f32 v78, v5, v22
	v_add_f32_e32 v76, v66, v16
	v_dual_add_f32 v16, v16, v17 :: v_dual_add_f32 v79, v22, v50
	v_dual_sub_f32 v81, v18, v19 :: v_dual_add_f32 v82, v67, v18
	v_dual_add_f32 v18, v18, v19 :: v_dual_fmac_f32 v9, -0.5, v46
	v_fma_f32 v8, -0.5, v30, v8
	v_dual_add_f32 v30, v33, v28 :: v_dual_add_f32 v27, v64, v27
	v_fma_f32 v33, -0.5, v34, v58
	v_fma_f32 v6, -0.5, v57, v6
	v_sub_f32_e32 v51, v51, v29
	v_dual_add_f32 v24, v24, v77 :: v_dual_add_f32 v31, v61, v31
	v_dual_add_f32 v28, v38, v80 :: v_dual_fmac_f32 v7, -0.5, v65
	v_dual_add_f32 v38, v56, v47 :: v_dual_fmac_f32 v63, -0.5, v21
	v_fma_f32 v26, -0.5, v26, v62
	v_add_f32_e32 v21, v71, v29
	v_fma_f32 v4, -0.5, v72, v4
	v_fma_f32 v16, -0.5, v16, v66
	v_dual_fmac_f32 v5, -0.5, v79 :: v_dual_fmamk_f32 v46, v60, 0xbf5db3d7, v6
	v_dual_fmac_f32 v67, -0.5, v18 :: v_dual_fmamk_f32 v18, v32, 0xbf5db3d7, v8
	v_dual_add_f32 v17, v76, v17 :: v_dual_fmac_f32 v8, 0x3f5db3d7, v32
	v_dual_add_f32 v29, v78, v50 :: v_dual_fmamk_f32 v32, v37, 0x3f5db3d7, v33
	v_fmac_f32_e32 v33, 0xbf5db3d7, v37
	v_fmamk_f32 v37, v48, 0xbf5db3d7, v9
	v_fmac_f32_e32 v9, 0x3f5db3d7, v48
	v_dual_add_f32 v19, v82, v19 :: v_dual_fmac_f32 v6, 0x3f5db3d7, v60
	global_inv scope:SCOPE_SE
	v_dual_sub_f32 v22, v22, v50 :: v_dual_fmac_f32 v59, -0.5, v41
	v_dual_add_f32 v34, v54, v49 :: v_dual_add_f32 v23, v69, v23
	v_dual_fmamk_f32 v47, v25, 0x3f5db3d7, v26 :: v_dual_fmamk_f32 v48, v70, 0x3f5db3d7, v63
	v_dual_fmac_f32 v26, 0xbf5db3d7, v25 :: v_dual_fmamk_f32 v25, v68, 0xbf5db3d7, v7
	v_dual_fmac_f32 v7, 0x3f5db3d7, v68 :: v_dual_fmamk_f32 v50, v51, 0x3f5db3d7, v16
	v_fmamk_f32 v49, v75, 0xbf5db3d7, v4
	v_fmac_f32_e32 v4, 0x3f5db3d7, v75
	v_dual_fmac_f32 v16, 0xbf5db3d7, v51 :: v_dual_fmamk_f32 v51, v81, 0xbf5db3d7, v5
	v_fmac_f32_e32 v5, 0x3f5db3d7, v81
	ds_store_2addr_b32 v73, v24, v18 offset1:16
	ds_store_b32 v73, v8 offset:128
	ds_store_2addr_b32 v39, v28, v37 offset1:16
	ds_store_b32 v39, v9 offset:128
	;; [unrolled: 2-line block ×6, first 2 shown]
	v_mul_lo_u16 v6, v90, 48
	v_sub_nc_u16 v12, v12, v91
	v_add_co_u32 v52, s0, s4, v52
	s_wait_alu 0xf1ff
	v_add_co_ci_u32_e64 v53, s0, s5, v53, s0
	v_sub_nc_u16 v6, v13, v6
	v_and_b32_e32 v12, 0xffff, v12
	v_and_b32_e32 v7, 0xff, v14
	v_fmamk_f32 v41, v55, 0x3f5db3d7, v59
	v_fmac_f32_e32 v63, 0xbf5db3d7, v70
	v_and_b32_e32 v6, 0xffff, v6
	v_fmac_f32_e32 v59, 0xbf5db3d7, v55
	v_dual_fmamk_f32 v54, v22, 0x3f5db3d7, v67 :: v_dual_lshlrev_b32 v13, 4, v12
	v_fmac_f32_e32 v67, 0xbf5db3d7, v22
	global_wb scope:SCOPE_SE
	s_wait_dscnt 0x0
	s_barrier_signal -1
	s_barrier_wait -1
	global_inv scope:SCOPE_SE
	ds_load_2addr_b32 v[28:29], v45 offset1:56
	ds_load_2addr_b32 v[8:9], v36 offset0:80 offset1:136
	ds_load_2addr_b32 v[57:58], v15 offset0:160 offset1:216
	;; [unrolled: 1-line block ×8, first 2 shown]
	global_wb scope:SCOPE_SE
	s_wait_dscnt 0x0
	s_barrier_signal -1
	s_barrier_wait -1
	global_inv scope:SCOPE_SE
	v_lshlrev_b32_e32 v12, 2, v12
	ds_store_2addr_b32 v73, v30, v32 offset1:16
	ds_store_b32 v73, v33 offset:128
	ds_store_2addr_b32 v39, v34, v41 offset1:16
	ds_store_b32 v39, v59 offset:128
	;; [unrolled: 2-line block ×6, first 2 shown]
	global_wb scope:SCOPE_SE
	s_wait_dscnt 0x0
	s_barrier_signal -1
	s_barrier_wait -1
	global_inv scope:SCOPE_SE
	s_clause 0x1
	global_load_b128 v[16:19], v[52:53], off offset:368
	global_load_b128 v[20:23], v94, s[4:5] offset:368
	v_lshlrev_b32_e32 v14, 4, v93
	v_lshlrev_b32_e32 v30, 4, v7
	v_cmp_lt_u32_e64 s0, 47, v0
	v_mul_u32_u24_e32 v31, 0x240, v89
	v_mul_u32_u24_e32 v34, 0x240, v90
	s_clause 0x1
	global_load_b128 v[24:27], v14, s[4:5] offset:368
	global_load_b128 v[51:54], v30, s[4:5] offset:368
	v_lshlrev_b32_e32 v14, 4, v6
	s_clause 0x1
	global_load_b128 v[67:70], v13, s[4:5] offset:368
	global_load_b128 v[71:74], v14, s[4:5] offset:368
	ds_load_2addr_b32 v[46:47], v36 offset0:80 offset1:136
	ds_load_2addr_b32 v[62:63], v15 offset0:160 offset1:216
	s_wait_alu 0xf1ff
	v_cndmask_b32_e64 v13, 0, 0x240, s0
	v_lshlrev_b32_e32 v14, 2, v85
	v_and_b32_e32 v30, 0xffff, v88
	v_lshlrev_b32_e32 v33, 2, v92
	v_lshlrev_b32_e32 v35, 2, v93
	;; [unrolled: 1-line block ×3, first 2 shown]
	v_add3_u32 v32, 0, v13, v14
	v_and_b32_e32 v13, 0xffff, v86
	v_and_b32_e32 v14, 0xffff, v87
	v_mul_u32_u24_e32 v30, 0x240, v30
	ds_load_2addr_b32 v[85:86], v36 offset0:192 offset1:248
	v_cmp_gt_u32_e64 s0, 32, v0
	v_mul_u32_u24_e32 v13, 0x240, v13
	s_delay_alu instid0(VALU_DEP_1)
	v_add3_u32 v38, 0, v13, v33
	v_add3_u32 v33, 0, v31, v12
	s_wait_loadcnt_dscnt 0x501
	v_mul_f32_e32 v61, v62, v19
	s_wait_loadcnt 0x4
	v_mul_f32_e32 v55, v47, v21
	v_mul_u32_u24_e32 v14, 0x240, v14
	v_dual_mul_f32 v59, v46, v17 :: v_dual_lshlrev_b32 v6, 2, v6
	v_mul_f32_e32 v56, v63, v23
	s_delay_alu instid0(VALU_DEP_3) | instskip(SKIP_1) | instid1(VALU_DEP_4)
	v_add3_u32 v37, 0, v14, v35
	v_add3_u32 v35, 0, v30, v7
	;; [unrolled: 1-line block ×3, first 2 shown]
	ds_load_2addr_b32 v[87:88], v42 offset0:16 offset1:72
	ds_load_2addr_b32 v[30:31], v45 offset1:56
	ds_load_2addr_b32 v[13:14], v45 offset0:112 offset1:168
	ds_load_2addr_b32 v[6:7], v10 offset0:96 offset1:152
	;; [unrolled: 1-line block ×4, first 2 shown]
	v_dual_mul_f32 v10, v8, v17 :: v_dual_mul_f32 v17, v57, v19
	v_mul_f32_e32 v19, v9, v21
	s_wait_loadcnt_dscnt 0x306
	v_dual_mul_f32 v48, v85, v25 :: v_dual_mul_f32 v21, v58, v23
	v_dual_mul_f32 v23, v77, v25 :: v_dual_fmac_f32 v56, v58, v22
	s_wait_loadcnt 0x2
	v_mul_f32_e32 v12, v86, v52
	v_fma_f32 v65, v46, v16, -v10
	v_fma_f32 v62, v62, v18, -v17
	v_dual_mul_f32 v25, v79, v27 :: v_dual_fmac_f32 v48, v77, v24
	v_fma_f32 v64, v63, v22, -v21
	v_fma_f32 v63, v85, v24, -v23
	s_wait_dscnt 0x5
	v_dual_mul_f32 v50, v87, v27 :: v_dual_mul_f32 v27, v78, v52
	v_mul_f32_e32 v52, v80, v54
	v_dual_mul_f32 v49, v88, v54 :: v_dual_fmac_f32 v12, v78, v51
	s_delay_alu instid0(VALU_DEP_3) | instskip(NEXT) | instid1(VALU_DEP_4)
	v_fmac_f32_e32 v50, v79, v26
	v_fma_f32 v60, v86, v51, -v27
	v_fmac_f32_e32 v55, v9, v20
	v_fmac_f32_e32 v59, v8, v16
	;; [unrolled: 1-line block ×3, first 2 shown]
	s_wait_loadcnt 0x0
	v_mul_f32_e32 v16, v84, v74
	v_fma_f32 v57, v88, v53, -v52
	s_wait_dscnt 0x1
	v_mul_f32_e32 v39, v89, v68
	v_fma_f32 v66, v47, v20, -v19
	v_add_f32_e32 v20, v48, v50
	s_wait_dscnt 0x0
	v_mul_f32_e32 v43, v91, v70
	v_fma_f32 v52, v92, v73, -v16
	v_sub_f32_e32 v24, v60, v57
	v_sub_f32_e32 v18, v66, v64
	v_add_f32_e32 v16, v29, v55
	v_dual_mul_f32 v10, v83, v70 :: v_dual_fmac_f32 v49, v80, v53
	v_dual_fmac_f32 v39, v81, v67 :: v_dual_add_f32 v22, v76, v12
	s_delay_alu instid0(VALU_DEP_3)
	v_dual_fmac_f32 v43, v83, v69 :: v_dual_add_f32 v16, v16, v56
	v_mul_f32_e32 v41, v90, v72
	v_mul_f32_e32 v8, v81, v68
	v_fma_f32 v51, v91, v69, -v10
	v_sub_f32_e32 v10, v65, v62
	v_fma_f32 v58, v87, v26, -v25
	v_add_f32_e32 v26, v39, v43
	v_fmac_f32_e32 v41, v82, v71
	v_mul_f32_e32 v9, v82, v72
	v_add_f32_e32 v23, v12, v49
	v_fma_f32 v53, v89, v67, -v8
	v_add_f32_e32 v8, v28, v59
	v_add_f32_e32 v46, v5, v41
	v_fma_f32 v54, v90, v71, -v9
	v_dual_fmac_f32 v76, -0.5, v23 :: v_dual_add_f32 v17, v55, v56
	v_mul_f32_e32 v47, v92, v74
	s_delay_alu instid0(VALU_DEP_3) | instskip(SKIP_1) | instid1(VALU_DEP_4)
	v_dual_add_f32 v69, v8, v61 :: v_dual_sub_f32 v68, v54, v52
	v_sub_f32_e32 v27, v53, v51
	v_fmac_f32_e32 v29, -0.5, v17
	v_add_f32_e32 v9, v59, v61
	v_fma_f32 v8, -0.5, v26, v4
	v_add_f32_e32 v19, v75, v48
	v_sub_f32_e32 v21, v63, v58
	v_add_f32_e32 v25, v4, v39
	v_fma_f32 v28, -0.5, v9, v28
	global_wb scope:SCOPE_SE
	v_add_f32_e32 v17, v19, v50
	v_fma_f32 v19, -0.5, v20, v75
	v_add_f32_e32 v20, v22, v49
	v_fmamk_f32 v23, v10, 0xbf5db3d7, v28
	v_fmac_f32_e32 v28, 0x3f5db3d7, v10
	v_fmamk_f32 v10, v18, 0xbf5db3d7, v29
	v_fmac_f32_e32 v29, 0x3f5db3d7, v18
	;; [unrolled: 2-line block ×4, first 2 shown]
	v_dual_fmamk_f32 v24, v27, 0xbf5db3d7, v8 :: v_dual_fmac_f32 v47, v84, v73
	v_add_f32_e32 v22, v25, v43
	s_barrier_signal -1
	s_barrier_wait -1
	global_inv scope:SCOPE_SE
	v_add_f32_e32 v67, v41, v47
	v_add_f32_e32 v9, v46, v47
                                        ; implicit-def: $vgpr46
	s_delay_alu instid0(VALU_DEP_2) | instskip(NEXT) | instid1(VALU_DEP_1)
	v_fmac_f32_e32 v5, -0.5, v67
	v_fmamk_f32 v4, v68, 0xbf5db3d7, v5
	v_dual_fmac_f32 v8, 0x3f5db3d7, v27 :: v_dual_fmac_f32 v5, 0x3f5db3d7, v68
	ds_store_2addr_b32 v32, v69, v23 offset1:48
	ds_store_b32 v32, v28 offset:384
	ds_store_2addr_b32 v38, v16, v10 offset1:48
	ds_store_b32 v38, v29 offset:384
	;; [unrolled: 2-line block ×6, first 2 shown]
	global_wb scope:SCOPE_SE
	s_wait_dscnt 0x0
	s_barrier_signal -1
	s_barrier_wait -1
	global_inv scope:SCOPE_SE
	ds_load_2addr_b32 v[16:17], v45 offset1:56
	ds_load_2addr_b32 v[24:25], v45 offset0:144 offset1:200
	ds_load_2addr_b32 v[18:19], v36 offset0:32 offset1:88
	ds_load_2addr_b32 v[20:21], v36 offset0:176 offset1:232
	ds_load_2addr_b32 v[26:27], v15 offset0:64 offset1:120
	ds_load_2addr_b32 v[22:23], v40 offset0:80 offset1:136
	ds_load_2addr_b32 v[28:29], v42 offset0:96 offset1:152
                                        ; implicit-def: $vgpr10
	s_and_saveexec_b32 s1, s0
	s_cbranch_execz .LBB0_15
; %bb.14:
	v_add_nc_u32_e32 v8, 0x100, v45
	ds_load_2addr_b32 v[4:5], v11 offset0:16 offset1:160
	ds_load_2addr_b32 v[10:11], v40 offset0:48 offset1:192
	;; [unrolled: 1-line block ×3, first 2 shown]
	ds_load_b32 v46, v45 offset:3904
.LBB0_15:
	s_wait_alu 0xfffe
	s_or_b32 exec_lo, exec_lo, s1
	v_sub_f32_e32 v59, v59, v61
	v_add_f32_e32 v67, v65, v62
	v_add_f32_e32 v65, v30, v65
	v_dual_add_f32 v61, v66, v64 :: v_dual_add_f32 v66, v31, v66
	v_dual_sub_f32 v55, v55, v56 :: v_dual_sub_f32 v12, v12, v49
	s_delay_alu instid0(VALU_DEP_3)
	v_add_f32_e32 v56, v65, v62
	v_add_f32_e32 v62, v63, v58
	v_fma_f32 v30, -0.5, v67, v30
	global_wb scope:SCOPE_SE
	s_wait_dscnt 0x0
	s_barrier_signal -1
	s_barrier_wait -1
	v_fma_f32 v62, -0.5, v62, v13
	v_add_f32_e32 v63, v13, v63
	v_dual_sub_f32 v13, v48, v50 :: v_dual_add_f32 v50, v14, v60
	global_inv scope:SCOPE_SE
	v_fmamk_f32 v49, v13, 0x3f5db3d7, v62
	v_fmac_f32_e32 v62, 0xbf5db3d7, v13
	v_dual_fmac_f32 v31, -0.5, v61 :: v_dual_add_f32 v48, v63, v58
	v_fmamk_f32 v61, v59, 0x3f5db3d7, v30
	v_dual_fmac_f32 v30, 0xbf5db3d7, v59 :: v_dual_add_f32 v59, v66, v64
	s_delay_alu instid0(VALU_DEP_3) | instskip(SKIP_4) | instid1(VALU_DEP_3)
	v_fmamk_f32 v64, v55, 0x3f5db3d7, v31
	v_dual_fmac_f32 v31, 0xbf5db3d7, v55 :: v_dual_add_f32 v50, v50, v57
	v_add_f32_e32 v55, v60, v57
	v_add_f32_e32 v13, v53, v51
	;; [unrolled: 1-line block ×3, first 2 shown]
	v_dual_add_f32 v53, v6, v53 :: v_dual_fmac_f32 v14, -0.5, v55
	s_delay_alu instid0(VALU_DEP_1)
	v_fmamk_f32 v55, v12, 0x3f5db3d7, v14
	v_fmac_f32_e32 v14, 0xbf5db3d7, v12
	v_fma_f32 v12, -0.5, v13, v6
	v_sub_f32_e32 v6, v39, v43
	v_add_f32_e32 v13, v7, v54
	v_fmac_f32_e32 v7, -0.5, v57
	v_sub_f32_e32 v39, v41, v47
	v_add_f32_e32 v41, v53, v51
	v_fmamk_f32 v43, v6, 0x3f5db3d7, v12
	v_dual_fmac_f32 v12, 0xbf5db3d7, v6 :: v_dual_add_f32 v13, v13, v52
	s_delay_alu instid0(VALU_DEP_4)
	v_fmamk_f32 v6, v39, 0x3f5db3d7, v7
	v_fmac_f32_e32 v7, 0xbf5db3d7, v39
	ds_store_2addr_b32 v32, v56, v61 offset1:48
	ds_store_b32 v32, v30 offset:384
	ds_store_2addr_b32 v38, v59, v64 offset1:48
	ds_store_b32 v38, v31 offset:384
	;; [unrolled: 2-line block ×6, first 2 shown]
	global_wb scope:SCOPE_SE
	s_wait_dscnt 0x0
	s_barrier_signal -1
	s_barrier_wait -1
	global_inv scope:SCOPE_SE
	ds_load_2addr_b32 v[30:31], v45 offset1:56
	ds_load_2addr_b32 v[34:35], v45 offset0:144 offset1:200
	ds_load_2addr_b32 v[32:33], v36 offset0:32 offset1:88
	;; [unrolled: 1-line block ×6, first 2 shown]
                                        ; implicit-def: $vgpr14
                                        ; implicit-def: $vgpr47
	s_and_saveexec_b32 s1, s0
	s_cbranch_execz .LBB0_17
; %bb.16:
	v_add_nc_u32_e32 v6, 0x100, v45
	v_add_nc_u32_e32 v7, 0x600, v45
	v_add_nc_u32_e32 v14, 0xa00, v45
	ds_load_2addr_b32 v[12:13], v6 offset0:48 offset1:192
	ds_load_2addr_b32 v[6:7], v7 offset0:16 offset1:160
	;; [unrolled: 1-line block ×3, first 2 shown]
	ds_load_b32 v47, v45 offset:3904
.LBB0_17:
	s_wait_alu 0xfffe
	s_or_b32 exec_lo, exec_lo, s1
	s_and_saveexec_b32 s1, vcc_lo
	s_cbranch_execz .LBB0_20
; %bb.18:
	v_mul_u32_u24_e32 v1, 6, v1
	v_mul_u32_u24_e32 v45, 6, v0
	v_add_co_u32 v2, vcc_lo, s8, v2
	s_wait_alu 0xfffd
	v_add_co_ci_u32_e32 v3, vcc_lo, s9, v3, vcc_lo
	v_lshlrev_b32_e32 v1, 3, v1
	s_clause 0x2
	global_load_b128 v[48:51], v1, s[4:5] offset:1136
	global_load_b128 v[52:55], v1, s[4:5] offset:1168
	global_load_b128 v[56:59], v1, s[4:5] offset:1152
	v_lshlrev_b32_e32 v1, 3, v45
	s_clause 0x2
	global_load_b128 v[60:63], v1, s[4:5] offset:1136
	global_load_b128 v[64:67], v1, s[4:5] offset:1168
	;; [unrolled: 1-line block ×3, first 2 shown]
	v_mov_b32_e32 v1, 0
	s_wait_loadcnt_dscnt 0x504
	v_mul_f32_e32 v75, v33, v51
	s_wait_loadcnt_dscnt 0x401
	v_mul_f32_e32 v76, v41, v53
	s_wait_loadcnt 0x3
	v_mul_f32_e32 v74, v37, v57
	v_lshlrev_b64_e32 v[72:73], 3, v[0:1]
	s_delay_alu instid0(VALU_DEP_3)
	v_fmac_f32_e32 v76, v23, v52
	s_wait_loadcnt_dscnt 0x100
	v_mul_f32_e32 v78, v42, v67
	s_wait_loadcnt 0x0
	v_mul_f32_e32 v80, v36, v69
	v_add_co_u32 v2, vcc_lo, v2, v72
	s_wait_alu 0xfffd
	v_add_co_ci_u32_e32 v3, vcc_lo, v3, v73, vcc_lo
	v_mul_f32_e32 v72, v43, v55
	v_mul_f32_e32 v45, v35, v49
	;; [unrolled: 1-line block ×3, first 2 shown]
	v_dual_mul_f32 v55, v29, v55 :: v_dual_mul_f32 v82, v40, v65
	v_dual_mul_f32 v57, v21, v57 :: v_dual_fmac_f32 v78, v28, v66
	v_dual_mul_f32 v59, v27, v59 :: v_dual_fmac_f32 v74, v21, v56
	;; [unrolled: 1-line block ×3, first 2 shown]
	v_mul_f32_e32 v69, v20, v69
	v_mul_f32_e32 v49, v25, v49
	v_dual_mul_f32 v51, v19, v51 :: v_dual_fmac_f32 v82, v22, v64
	v_dual_mul_f32 v65, v22, v65 :: v_dual_fmac_f32 v72, v29, v54
	v_fmac_f32_e32 v45, v25, v48
	v_mul_f32_e32 v81, v32, v63
	v_fma_f32 v23, v37, v56, -v57
	v_fma_f32 v25, v39, v58, -v59
	;; [unrolled: 1-line block ×3, first 2 shown]
	v_mul_f32_e32 v63, v18, v63
	v_mul_f32_e32 v77, v34, v61
	s_delay_alu instid0(VALU_DEP_4)
	v_dual_mul_f32 v61, v24, v61 :: v_dual_add_f32 v36, v25, v23
	v_fmac_f32_e32 v75, v19, v50
	v_mul_f32_e32 v67, v28, v67
	v_fma_f32 v29, v33, v50, -v51
	v_fma_f32 v28, v32, v62, -v63
	v_dual_sub_f32 v32, v45, v72 :: v_dual_fmac_f32 v73, v27, v58
	v_fma_f32 v27, v41, v52, -v53
	v_fma_f32 v19, v43, v54, -v55
	;; [unrolled: 1-line block ×4, first 2 shown]
	v_sub_f32_e32 v33, v73, v74
	v_add_f32_e32 v37, v29, v27
	s_delay_alu instid0(VALU_DEP_1) | instskip(SKIP_2) | instid1(VALU_DEP_2)
	v_dual_sub_f32 v50, v36, v37 :: v_dual_mul_f32 v79, v38, v71
	v_dual_sub_f32 v34, v75, v76 :: v_dual_mul_f32 v71, v26, v71
	v_fmac_f32_e32 v77, v24, v60
	v_fma_f32 v24, v38, v70, -v71
	v_add_f32_e32 v38, v45, v72
	v_add_f32_e32 v35, v21, v19
	v_sub_f32_e32 v19, v21, v19
	v_sub_f32_e32 v21, v25, v23
	;; [unrolled: 1-line block ×3, first 2 shown]
	v_fmac_f32_e32 v79, v26, v70
	v_fma_f32 v26, v40, v64, -v65
	v_add_f32_e32 v40, v75, v76
	s_delay_alu instid0(VALU_DEP_3) | instskip(SKIP_4) | instid1(VALU_DEP_3)
	v_dual_sub_f32 v56, v21, v23 :: v_dual_sub_f32 v27, v79, v80
	v_fmac_f32_e32 v81, v18, v62
	v_fma_f32 v18, v42, v66, -v67
	v_add_f32_e32 v42, v24, v22
	v_dual_add_f32 v48, v79, v80 :: v_dual_add_f32 v43, v28, v26
	v_dual_add_f32 v54, v38, v40 :: v_dual_add_f32 v41, v20, v18
	v_sub_f32_e32 v18, v20, v18
	v_sub_f32_e32 v20, v24, v22
	v_dual_sub_f32 v24, v32, v33 :: v_dual_add_f32 v39, v73, v74
	v_sub_f32_e32 v22, v28, v26
	v_sub_f32_e32 v58, v42, v43
	s_delay_alu instid0(VALU_DEP_3) | instskip(SKIP_4) | instid1(VALU_DEP_4)
	v_sub_f32_e32 v52, v38, v39
	v_sub_f32_e32 v26, v33, v34
	;; [unrolled: 1-line block ×3, first 2 shown]
	v_dual_add_f32 v28, v33, v34 :: v_dual_sub_f32 v33, v35, v36
	v_sub_f32_e32 v34, v34, v32
	v_dual_mul_f32 v26, 0x3f08b237, v26 :: v_dual_add_f32 v51, v35, v37
	v_sub_f32_e32 v35, v37, v35
	v_dual_sub_f32 v37, v40, v38 :: v_dual_sub_f32 v38, v25, v27
	v_dual_sub_f32 v29, v81, v82 :: v_dual_add_f32 v28, v32, v28
	v_sub_f32_e32 v53, v39, v40
	v_fmamk_f32 v65, v24, 0xbeae86e6, v26
	v_dual_add_f32 v45, v77, v78 :: v_dual_mul_f32 v32, 0x3f4a47b2, v33
	s_delay_alu instid0(VALU_DEP_4) | instskip(NEXT) | instid1(VALU_DEP_3)
	v_sub_f32_e32 v40, v27, v29
	v_dual_sub_f32 v64, v20, v22 :: v_dual_fmac_f32 v65, 0xbee1c552, v28
	s_delay_alu instid0(VALU_DEP_3) | instskip(NEXT) | instid1(VALU_DEP_3)
	v_dual_sub_f32 v60, v45, v48 :: v_dual_add_f32 v39, v39, v54
	v_dual_mul_f32 v40, 0x3f08b237, v40 :: v_dual_add_f32 v49, v81, v82
	v_dual_add_f32 v36, v36, v51 :: v_dual_mul_f32 v51, 0x3f08b237, v56
	v_mul_f32_e32 v54, 0x3d64c772, v58
	v_fma_f32 v26, 0xbf5ff5aa, v34, -v26
	s_delay_alu instid0(VALU_DEP_4) | instskip(SKIP_2) | instid1(VALU_DEP_4)
	v_sub_f32_e32 v61, v48, v49
	v_add_f32_e32 v62, v45, v49
	v_dual_add_f32 v59, v41, v43 :: v_dual_mul_f32 v56, 0x3f4a47b2, v60
	v_fmac_f32_e32 v26, 0xbee1c552, v28
	s_delay_alu instid0(VALU_DEP_4) | instskip(SKIP_4) | instid1(VALU_DEP_4)
	v_dual_mul_f32 v58, 0x3d64c772, v61 :: v_dual_sub_f32 v63, v18, v20
	v_add_f32_e32 v20, v20, v22
	v_dual_sub_f32 v22, v22, v18 :: v_dual_add_f32 v27, v27, v29
	v_sub_f32_e32 v29, v29, v25
	v_sub_f32_e32 v57, v41, v42
	v_add_f32_e32 v61, v18, v20
	v_add_f32_e32 v18, v31, v36
	v_dual_sub_f32 v55, v19, v21 :: v_dual_add_f32 v42, v42, v59
	v_add_f32_e32 v21, v21, v23
	v_dual_sub_f32 v23, v23, v19 :: v_dual_add_f32 v48, v48, v62
	v_sub_f32_e32 v41, v43, v41
	s_delay_alu instid0(VALU_DEP_4)
	v_dual_mul_f32 v59, 0x3f08b237, v64 :: v_dual_add_f32 v20, v30, v42
	v_dual_fmamk_f32 v30, v60, 0x3f4a47b2, v58 :: v_dual_sub_f32 v43, v49, v45
	v_dual_mul_f32 v45, 0x3d64c772, v50 :: v_dual_mul_f32 v50, 0x3d64c772, v53
	v_add_f32_e32 v21, v19, v21
	v_mul_f32_e32 v19, 0xbf5ff5aa, v34
	v_fma_f32 v34, 0xbf5ff5aa, v23, -v51
	v_mul_f32_e32 v49, 0x3f4a47b2, v52
	v_mul_f32_e32 v62, 0xbf5ff5aa, v29
	v_fmamk_f32 v31, v52, 0x3f4a47b2, v50
	v_fmamk_f32 v52, v55, 0xbeae86e6, v51
	v_fma_f32 v66, 0x3eae86e6, v24, -v19
	v_dual_fmac_f32 v34, 0xbee1c552, v21 :: v_dual_add_f32 v19, v16, v48
	v_mul_f32_e32 v64, 0xbf5ff5aa, v22
	v_fma_f32 v24, 0xbf3bfb3b, v35, -v32
	v_fma_f32 v35, 0x3f3bfb3b, v35, -v45
	v_dual_fmac_f32 v52, 0xbee1c552, v21 :: v_dual_add_f32 v17, v17, v39
	v_fmac_f32_e32 v66, 0xbee1c552, v28
	v_dual_fmamk_f32 v28, v48, 0xbf955555, v19 :: v_dual_add_f32 v25, v25, v27
	v_fmamk_f32 v33, v33, 0x3f4a47b2, v45
	v_fmamk_f32 v45, v38, 0xbeae86e6, v40
	v_fma_f32 v38, 0x3eae86e6, v38, -v62
	v_fma_f32 v40, 0xbf5ff5aa, v29, -v40
	v_fmamk_f32 v29, v36, 0xbf955555, v18
	v_mul_f32_e32 v53, 0xbf5ff5aa, v23
	v_fmamk_f32 v36, v39, 0xbf955555, v17
	v_fmac_f32_e32 v45, 0xbee1c552, v25
	v_fmac_f32_e32 v38, 0xbee1c552, v25
	;; [unrolled: 1-line block ×3, first 2 shown]
	v_add_f32_e32 v25, v35, v29
	v_fma_f32 v32, 0xbf3bfb3b, v37, -v49
	v_fma_f32 v49, 0x3eae86e6, v55, -v53
	;; [unrolled: 1-line block ×3, first 2 shown]
	v_add_f32_e32 v39, v24, v29
	v_dual_mul_f32 v27, 0x3f4a47b2, v57 :: v_dual_sub_f32 v24, v25, v26
	v_fmamk_f32 v16, v63, 0xbeae86e6, v59
	v_fma_f32 v50, 0xbf3bfb3b, v43, -v56
	v_fma_f32 v53, 0xbf5ff5aa, v22, -v59
	;; [unrolled: 1-line block ×3, first 2 shown]
	v_fmac_f32_e32 v49, 0xbee1c552, v21
	v_fmamk_f32 v21, v42, 0xbf955555, v20
	v_add_f32_e32 v43, v30, v28
	v_add_f32_e32 v48, v50, v28
	;; [unrolled: 1-line block ×4, first 2 shown]
	v_fma_f32 v27, 0xbf3bfb3b, v41, -v27
	v_fma_f32 v41, 0x3f3bfb3b, v41, -v54
	v_dual_sub_f32 v28, v39, v66 :: v_dual_add_f32 v33, v33, v29
	v_fma_f32 v51, 0x3eae86e6, v63, -v64
	s_delay_alu instid0(VALU_DEP_3) | instskip(NEXT) | instid1(VALU_DEP_3)
	v_dual_add_f32 v32, v32, v36 :: v_dual_add_f32 v41, v41, v21
	v_dual_add_f32 v29, v23, v36 :: v_dual_sub_f32 v30, v33, v65
	v_add_f32_e32 v31, v31, v36
	v_fmamk_f32 v37, v57, 0x3f4a47b2, v54
	s_delay_alu instid0(VALU_DEP_4) | instskip(SKIP_2) | instid1(VALU_DEP_4)
	v_dual_fmac_f32 v51, 0xbee1c552, v61 :: v_dual_sub_f32 v36, v41, v40
	v_add_f32_e32 v40, v40, v41
	v_fmac_f32_e32 v53, 0xbee1c552, v61
	v_add_f32_e32 v42, v37, v21
	v_add_f32_e32 v37, v27, v21
	v_fmac_f32_e32 v16, 0xbee1c552, v61
	v_add_f32_e32 v23, v34, v29
	v_dual_add_f32 v26, v26, v25 :: v_dual_sub_f32 v25, v29, v34
	s_delay_alu instid0(VALU_DEP_4)
	v_add_f32_e32 v34, v38, v37
	v_dual_sub_f32 v38, v37, v38 :: v_dual_add_f32 v37, v51, v48
	v_add_f32_e32 v35, v53, v50
	global_store_b64 v[2:3], v[19:20], off
	v_sub_f32_e32 v19, v31, v52
	v_sub_f32_e32 v21, v32, v49
	v_add_f32_e32 v27, v49, v32
	v_add_f32_e32 v32, v45, v42
	v_dual_sub_f32 v42, v42, v45 :: v_dual_add_f32 v41, v16, v43
	v_dual_add_f32 v29, v52, v31 :: v_dual_add_f32 v20, v65, v33
	v_sub_f32_e32 v31, v43, v16
	v_sub_f32_e32 v33, v48, v51
	;; [unrolled: 1-line block ×3, first 2 shown]
	s_clause 0xc
	global_store_b64 v[2:3], v[37:38], off offset:2304
	global_store_b64 v[2:3], v[35:36], off offset:4608
	;; [unrolled: 1-line block ×13, first 2 shown]
	s_and_b32 exec_lo, exec_lo, s0
	s_cbranch_execz .LBB0_20
; %bb.19:
	v_subrev_nc_u32_e32 v0, 32, v0
	s_delay_alu instid0(VALU_DEP_1) | instskip(NEXT) | instid1(VALU_DEP_1)
	v_cndmask_b32_e64 v0, v0, v44, s0
	v_mul_i32_i24_e32 v0, 6, v0
	s_delay_alu instid0(VALU_DEP_1) | instskip(NEXT) | instid1(VALU_DEP_1)
	v_lshlrev_b64_e32 v[0:1], 3, v[0:1]
	v_add_co_u32 v0, vcc_lo, s4, v0
	s_wait_alu 0xfffd
	s_delay_alu instid0(VALU_DEP_2)
	v_add_co_ci_u32_e32 v1, vcc_lo, s5, v1, vcc_lo
	s_clause 0x2
	global_load_b128 v[16:19], v[0:1], off offset:1136
	global_load_b128 v[20:23], v[0:1], off offset:1152
	;; [unrolled: 1-line block ×3, first 2 shown]
	s_wait_loadcnt 0x1
	v_dual_mul_f32 v0, v13, v17 :: v_dual_mul_f32 v29, v14, v23
	s_wait_loadcnt 0x0
	v_mul_f32_e32 v30, v15, v25
	v_mul_f32_e32 v1, v9, v17
	;; [unrolled: 1-line block ×3, first 2 shown]
	v_dual_mul_f32 v19, v4, v19 :: v_dual_mul_f32 v28, v7, v21
	v_dual_mul_f32 v23, v10, v23 :: v_dual_fmac_f32 v0, v9, v16
	v_mul_f32_e32 v25, v11, v25
	s_delay_alu instid0(VALU_DEP_3) | instskip(SKIP_3) | instid1(VALU_DEP_4)
	v_dual_fmac_f32 v29, v10, v22 :: v_dual_fmac_f32 v28, v5, v20
	v_dual_fmac_f32 v17, v4, v18 :: v_dual_fmac_f32 v30, v11, v24
	v_fma_f32 v1, v13, v16, -v1
	v_fma_f32 v4, v6, v18, -v19
	v_dual_sub_f32 v16, v29, v28 :: v_dual_mul_f32 v31, v47, v27
	v_mul_f32_e32 v27, v46, v27
	v_fma_f32 v9, v15, v24, -v25
	s_delay_alu instid0(VALU_DEP_2) | instskip(NEXT) | instid1(VALU_DEP_1)
	v_fma_f32 v6, v47, v26, -v27
	v_add_f32_e32 v11, v1, v6
	v_sub_f32_e32 v1, v1, v6
	v_add_f32_e32 v6, v17, v30
	v_fmac_f32_e32 v31, v46, v26
	v_add_f32_e32 v13, v4, v9
	v_sub_f32_e32 v4, v4, v9
	s_delay_alu instid0(VALU_DEP_3) | instskip(SKIP_1) | instid1(VALU_DEP_2)
	v_dual_mul_f32 v21, v5, v21 :: v_dual_add_f32 v10, v0, v31
	v_sub_f32_e32 v0, v0, v31
	v_fma_f32 v5, v7, v20, -v21
	v_fma_f32 v7, v14, v22, -v23
	v_dual_sub_f32 v14, v17, v30 :: v_dual_add_f32 v9, v28, v29
	s_delay_alu instid0(VALU_DEP_2) | instskip(NEXT) | instid1(VALU_DEP_2)
	v_dual_sub_f32 v18, v6, v10 :: v_dual_add_f32 v15, v5, v7
	v_add_f32_e32 v20, v16, v14
	v_sub_f32_e32 v22, v16, v14
	v_sub_f32_e32 v16, v0, v16
	v_dual_sub_f32 v14, v14, v0 :: v_dual_sub_f32 v5, v7, v5
	v_add_f32_e32 v7, v6, v10
	v_dual_sub_f32 v10, v10, v9 :: v_dual_add_f32 v17, v13, v11
	v_sub_f32_e32 v6, v9, v6
	v_sub_f32_e32 v19, v13, v11
	v_add_f32_e32 v21, v5, v4
	v_sub_f32_e32 v23, v5, v4
	v_dual_sub_f32 v11, v11, v15 :: v_dual_mul_f32 v22, 0x3f08b237, v22
	v_dual_sub_f32 v4, v4, v1 :: v_dual_add_f32 v7, v9, v7
	v_dual_sub_f32 v13, v15, v13 :: v_dual_mul_f32 v24, 0xbf5ff5aa, v14
	s_delay_alu instid0(VALU_DEP_3)
	v_dual_mul_f32 v10, 0x3f4a47b2, v10 :: v_dual_mul_f32 v11, 0x3f4a47b2, v11
	v_add_f32_e32 v9, v15, v17
	v_dual_add_f32 v15, v20, v0 :: v_dual_mul_f32 v20, 0x3d64c772, v6
	v_mul_f32_e32 v23, 0x3f08b237, v23
	v_dual_add_f32 v0, v8, v7 :: v_dual_sub_f32 v5, v1, v5
	v_dual_fmamk_f32 v6, v6, 0x3d64c772, v10 :: v_dual_add_f32 v17, v21, v1
	v_mul_f32_e32 v25, 0xbf5ff5aa, v4
	v_fmamk_f32 v8, v13, 0x3d64c772, v11
	v_fma_f32 v10, 0xbf3bfb3b, v18, -v10
	v_fma_f32 v14, 0xbf5ff5aa, v14, -v22
	v_add_f32_e32 v1, v12, v9
	v_fma_f32 v12, 0x3f3bfb3b, v18, -v20
	v_fmamk_f32 v18, v16, 0xbeae86e6, v22
	v_fma_f32 v20, 0xbf5ff5aa, v4, -v23
	v_fmamk_f32 v4, v7, 0xbf955555, v0
	v_fmac_f32_e32 v14, 0xbee1c552, v15
	v_mul_f32_e32 v21, 0x3d64c772, v13
	v_fma_f32 v16, 0x3eae86e6, v16, -v24
	v_fmac_f32_e32 v18, 0xbee1c552, v15
	v_add_f32_e32 v22, v10, v4
	v_fmac_f32_e32 v20, 0xbee1c552, v17
	v_fma_f32 v13, 0x3f3bfb3b, v19, -v21
	v_fma_f32 v21, 0x3eae86e6, v5, -v25
	v_dual_fmac_f32 v16, 0xbee1c552, v15 :: v_dual_add_f32 v15, v6, v4
	v_add_f32_e32 v12, v12, v4
	v_fma_f32 v11, 0xbf3bfb3b, v19, -v11
	s_delay_alu instid0(VALU_DEP_2) | instskip(NEXT) | instid1(VALU_DEP_1)
	v_dual_fmac_f32 v21, 0xbee1c552, v17 :: v_dual_add_f32 v10, v20, v12
	v_add_f32_e32 v6, v21, v22
	v_fmamk_f32 v19, v5, 0xbeae86e6, v23
	v_fmamk_f32 v5, v9, 0xbf955555, v1
	s_delay_alu instid0(VALU_DEP_2) | instskip(NEXT) | instid1(VALU_DEP_2)
	v_fmac_f32_e32 v19, 0xbee1c552, v17
	v_add_f32_e32 v17, v8, v5
	v_add_f32_e32 v23, v11, v5
	v_dual_add_f32 v11, v13, v5 :: v_dual_sub_f32 v8, v12, v20
	s_delay_alu instid0(VALU_DEP_4) | instskip(NEXT) | instid1(VALU_DEP_3)
	v_add_f32_e32 v4, v19, v15
	v_dual_sub_f32 v12, v22, v21 :: v_dual_sub_f32 v7, v23, v16
	s_delay_alu instid0(VALU_DEP_3)
	v_add_f32_e32 v9, v14, v11
	v_sub_f32_e32 v11, v11, v14
	v_dual_sub_f32 v14, v15, v19 :: v_dual_sub_f32 v5, v17, v18
	v_add_f32_e32 v13, v16, v23
	v_add_f32_e32 v15, v18, v17
	s_clause 0x6
	global_store_b64 v[2:3], v[0:1], off offset:896
	global_store_b64 v[2:3], v[4:5], off offset:2048
	;; [unrolled: 1-line block ×7, first 2 shown]
.LBB0_20:
	s_nop 0
	s_sendmsg sendmsg(MSG_DEALLOC_VGPRS)
	s_endpgm
	.section	.rodata,"a",@progbits
	.p2align	6, 0x0
	.amdhsa_kernel fft_rtc_back_len1008_factors_2_2_2_2_3_3_7_wgs_56_tpt_56_halfLds_sp_ip_CI_unitstride_sbrr_dirReg
		.amdhsa_group_segment_fixed_size 0
		.amdhsa_private_segment_fixed_size 0
		.amdhsa_kernarg_size 88
		.amdhsa_user_sgpr_count 2
		.amdhsa_user_sgpr_dispatch_ptr 0
		.amdhsa_user_sgpr_queue_ptr 0
		.amdhsa_user_sgpr_kernarg_segment_ptr 1
		.amdhsa_user_sgpr_dispatch_id 0
		.amdhsa_user_sgpr_private_segment_size 0
		.amdhsa_wavefront_size32 1
		.amdhsa_uses_dynamic_stack 0
		.amdhsa_enable_private_segment 0
		.amdhsa_system_sgpr_workgroup_id_x 1
		.amdhsa_system_sgpr_workgroup_id_y 0
		.amdhsa_system_sgpr_workgroup_id_z 0
		.amdhsa_system_sgpr_workgroup_info 0
		.amdhsa_system_vgpr_workitem_id 0
		.amdhsa_next_free_vgpr 95
		.amdhsa_next_free_sgpr 32
		.amdhsa_reserve_vcc 1
		.amdhsa_float_round_mode_32 0
		.amdhsa_float_round_mode_16_64 0
		.amdhsa_float_denorm_mode_32 3
		.amdhsa_float_denorm_mode_16_64 3
		.amdhsa_fp16_overflow 0
		.amdhsa_workgroup_processor_mode 1
		.amdhsa_memory_ordered 1
		.amdhsa_forward_progress 0
		.amdhsa_round_robin_scheduling 0
		.amdhsa_exception_fp_ieee_invalid_op 0
		.amdhsa_exception_fp_denorm_src 0
		.amdhsa_exception_fp_ieee_div_zero 0
		.amdhsa_exception_fp_ieee_overflow 0
		.amdhsa_exception_fp_ieee_underflow 0
		.amdhsa_exception_fp_ieee_inexact 0
		.amdhsa_exception_int_div_zero 0
	.end_amdhsa_kernel
	.text
.Lfunc_end0:
	.size	fft_rtc_back_len1008_factors_2_2_2_2_3_3_7_wgs_56_tpt_56_halfLds_sp_ip_CI_unitstride_sbrr_dirReg, .Lfunc_end0-fft_rtc_back_len1008_factors_2_2_2_2_3_3_7_wgs_56_tpt_56_halfLds_sp_ip_CI_unitstride_sbrr_dirReg
                                        ; -- End function
	.section	.AMDGPU.csdata,"",@progbits
; Kernel info:
; codeLenInByte = 11388
; NumSgprs: 34
; NumVgprs: 95
; ScratchSize: 0
; MemoryBound: 0
; FloatMode: 240
; IeeeMode: 1
; LDSByteSize: 0 bytes/workgroup (compile time only)
; SGPRBlocks: 4
; VGPRBlocks: 11
; NumSGPRsForWavesPerEU: 34
; NumVGPRsForWavesPerEU: 95
; Occupancy: 16
; WaveLimiterHint : 1
; COMPUTE_PGM_RSRC2:SCRATCH_EN: 0
; COMPUTE_PGM_RSRC2:USER_SGPR: 2
; COMPUTE_PGM_RSRC2:TRAP_HANDLER: 0
; COMPUTE_PGM_RSRC2:TGID_X_EN: 1
; COMPUTE_PGM_RSRC2:TGID_Y_EN: 0
; COMPUTE_PGM_RSRC2:TGID_Z_EN: 0
; COMPUTE_PGM_RSRC2:TIDIG_COMP_CNT: 0
	.text
	.p2alignl 7, 3214868480
	.fill 96, 4, 3214868480
	.type	__hip_cuid_d5c339b95eac6292,@object ; @__hip_cuid_d5c339b95eac6292
	.section	.bss,"aw",@nobits
	.globl	__hip_cuid_d5c339b95eac6292
__hip_cuid_d5c339b95eac6292:
	.byte	0                               ; 0x0
	.size	__hip_cuid_d5c339b95eac6292, 1

	.ident	"AMD clang version 19.0.0git (https://github.com/RadeonOpenCompute/llvm-project roc-6.4.0 25133 c7fe45cf4b819c5991fe208aaa96edf142730f1d)"
	.section	".note.GNU-stack","",@progbits
	.addrsig
	.addrsig_sym __hip_cuid_d5c339b95eac6292
	.amdgpu_metadata
---
amdhsa.kernels:
  - .args:
      - .actual_access:  read_only
        .address_space:  global
        .offset:         0
        .size:           8
        .value_kind:     global_buffer
      - .offset:         8
        .size:           8
        .value_kind:     by_value
      - .actual_access:  read_only
        .address_space:  global
        .offset:         16
        .size:           8
        .value_kind:     global_buffer
      - .actual_access:  read_only
        .address_space:  global
        .offset:         24
        .size:           8
        .value_kind:     global_buffer
      - .offset:         32
        .size:           8
        .value_kind:     by_value
      - .actual_access:  read_only
        .address_space:  global
        .offset:         40
        .size:           8
        .value_kind:     global_buffer
      - .actual_access:  read_only
        .address_space:  global
        .offset:         48
        .size:           8
        .value_kind:     global_buffer
      - .offset:         56
        .size:           4
        .value_kind:     by_value
      - .actual_access:  read_only
        .address_space:  global
        .offset:         64
        .size:           8
        .value_kind:     global_buffer
      - .actual_access:  read_only
        .address_space:  global
        .offset:         72
        .size:           8
        .value_kind:     global_buffer
      - .address_space:  global
        .offset:         80
        .size:           8
        .value_kind:     global_buffer
    .group_segment_fixed_size: 0
    .kernarg_segment_align: 8
    .kernarg_segment_size: 88
    .language:       OpenCL C
    .language_version:
      - 2
      - 0
    .max_flat_workgroup_size: 56
    .name:           fft_rtc_back_len1008_factors_2_2_2_2_3_3_7_wgs_56_tpt_56_halfLds_sp_ip_CI_unitstride_sbrr_dirReg
    .private_segment_fixed_size: 0
    .sgpr_count:     34
    .sgpr_spill_count: 0
    .symbol:         fft_rtc_back_len1008_factors_2_2_2_2_3_3_7_wgs_56_tpt_56_halfLds_sp_ip_CI_unitstride_sbrr_dirReg.kd
    .uniform_work_group_size: 1
    .uses_dynamic_stack: false
    .vgpr_count:     95
    .vgpr_spill_count: 0
    .wavefront_size: 32
    .workgroup_processor_mode: 1
amdhsa.target:   amdgcn-amd-amdhsa--gfx1201
amdhsa.version:
  - 1
  - 2
...

	.end_amdgpu_metadata
